;; amdgpu-corpus repo=ROCm/rocFFT kind=compiled arch=gfx906 opt=O3
	.text
	.amdgcn_target "amdgcn-amd-amdhsa--gfx906"
	.amdhsa_code_object_version 6
	.protected	fft_rtc_fwd_len1716_factors_13_2_6_11_wgs_156_tpt_156_half_op_CI_CI_unitstride_sbrr_R2C_dirReg ; -- Begin function fft_rtc_fwd_len1716_factors_13_2_6_11_wgs_156_tpt_156_half_op_CI_CI_unitstride_sbrr_R2C_dirReg
	.globl	fft_rtc_fwd_len1716_factors_13_2_6_11_wgs_156_tpt_156_half_op_CI_CI_unitstride_sbrr_R2C_dirReg
	.p2align	8
	.type	fft_rtc_fwd_len1716_factors_13_2_6_11_wgs_156_tpt_156_half_op_CI_CI_unitstride_sbrr_R2C_dirReg,@function
fft_rtc_fwd_len1716_factors_13_2_6_11_wgs_156_tpt_156_half_op_CI_CI_unitstride_sbrr_R2C_dirReg: ; @fft_rtc_fwd_len1716_factors_13_2_6_11_wgs_156_tpt_156_half_op_CI_CI_unitstride_sbrr_R2C_dirReg
; %bb.0:
	s_load_dwordx4 s[8:11], s[4:5], 0x58
	s_load_dwordx4 s[12:15], s[4:5], 0x0
	;; [unrolled: 1-line block ×3, first 2 shown]
	v_mul_u32_u24_e32 v1, 0x1a5, v0
	v_mov_b32_e32 v8, 0
	v_mov_b32_e32 v6, 0
	s_waitcnt lgkmcnt(0)
	v_cmp_lt_u64_e64 s[0:1], s[14:15], 2
	v_add_u32_sdwa v10, s6, v1 dst_sel:DWORD dst_unused:UNUSED_PAD src0_sel:DWORD src1_sel:WORD_1
	v_mov_b32_e32 v11, v8
	s_and_b64 vcc, exec, s[0:1]
	v_mov_b32_e32 v7, 0
	s_cbranch_vccnz .LBB0_8
; %bb.1:
	s_load_dwordx2 s[0:1], s[4:5], 0x10
	s_add_u32 s2, s18, 8
	s_addc_u32 s3, s19, 0
	s_add_u32 s6, s16, 8
	s_addc_u32 s7, s17, 0
	v_mov_b32_e32 v6, 0
	s_waitcnt lgkmcnt(0)
	s_add_u32 s20, s0, 8
	v_mov_b32_e32 v7, 0
	v_mov_b32_e32 v1, v6
	s_addc_u32 s21, s1, 0
	s_mov_b64 s[22:23], 1
	v_mov_b32_e32 v2, v7
.LBB0_2:                                ; =>This Inner Loop Header: Depth=1
	s_load_dwordx2 s[24:25], s[20:21], 0x0
                                        ; implicit-def: $vgpr3_vgpr4
	s_waitcnt lgkmcnt(0)
	v_or_b32_e32 v9, s25, v11
	v_cmp_ne_u64_e32 vcc, 0, v[8:9]
	s_and_saveexec_b64 s[0:1], vcc
	s_xor_b64 s[26:27], exec, s[0:1]
	s_cbranch_execz .LBB0_4
; %bb.3:                                ;   in Loop: Header=BB0_2 Depth=1
	v_cvt_f32_u32_e32 v3, s24
	v_cvt_f32_u32_e32 v4, s25
	s_sub_u32 s0, 0, s24
	s_subb_u32 s1, 0, s25
	v_mac_f32_e32 v3, 0x4f800000, v4
	v_rcp_f32_e32 v3, v3
	v_mul_f32_e32 v3, 0x5f7ffffc, v3
	v_mul_f32_e32 v4, 0x2f800000, v3
	v_trunc_f32_e32 v4, v4
	v_mac_f32_e32 v3, 0xcf800000, v4
	v_cvt_u32_f32_e32 v4, v4
	v_cvt_u32_f32_e32 v3, v3
	v_mul_lo_u32 v5, s0, v4
	v_mul_hi_u32 v9, s0, v3
	v_mul_lo_u32 v13, s1, v3
	v_mul_lo_u32 v12, s0, v3
	v_add_u32_e32 v5, v9, v5
	v_add_u32_e32 v5, v5, v13
	v_mul_hi_u32 v9, v3, v12
	v_mul_lo_u32 v13, v3, v5
	v_mul_hi_u32 v15, v3, v5
	v_mul_hi_u32 v14, v4, v12
	v_mul_lo_u32 v12, v4, v12
	v_mul_hi_u32 v16, v4, v5
	v_add_co_u32_e32 v9, vcc, v9, v13
	v_addc_co_u32_e32 v13, vcc, 0, v15, vcc
	v_mul_lo_u32 v5, v4, v5
	v_add_co_u32_e32 v9, vcc, v9, v12
	v_addc_co_u32_e32 v9, vcc, v13, v14, vcc
	v_addc_co_u32_e32 v12, vcc, 0, v16, vcc
	v_add_co_u32_e32 v5, vcc, v9, v5
	v_addc_co_u32_e32 v9, vcc, 0, v12, vcc
	v_add_co_u32_e32 v3, vcc, v3, v5
	v_addc_co_u32_e32 v4, vcc, v4, v9, vcc
	v_mul_lo_u32 v5, s0, v4
	v_mul_hi_u32 v9, s0, v3
	v_mul_lo_u32 v12, s1, v3
	v_mul_lo_u32 v13, s0, v3
	v_add_u32_e32 v5, v9, v5
	v_add_u32_e32 v5, v5, v12
	v_mul_lo_u32 v14, v3, v5
	v_mul_hi_u32 v15, v3, v13
	v_mul_hi_u32 v16, v3, v5
	v_mul_hi_u32 v12, v4, v13
	v_mul_lo_u32 v13, v4, v13
	v_mul_hi_u32 v9, v4, v5
	v_add_co_u32_e32 v14, vcc, v15, v14
	v_addc_co_u32_e32 v15, vcc, 0, v16, vcc
	v_mul_lo_u32 v5, v4, v5
	v_add_co_u32_e32 v13, vcc, v14, v13
	v_addc_co_u32_e32 v12, vcc, v15, v12, vcc
	v_addc_co_u32_e32 v9, vcc, 0, v9, vcc
	v_add_co_u32_e32 v5, vcc, v12, v5
	v_addc_co_u32_e32 v9, vcc, 0, v9, vcc
	v_add_co_u32_e32 v5, vcc, v3, v5
	v_addc_co_u32_e32 v9, vcc, v4, v9, vcc
	v_mad_u64_u32 v[3:4], s[0:1], v10, v9, 0
	v_mul_hi_u32 v12, v10, v5
	v_add_co_u32_e32 v14, vcc, v12, v3
	v_addc_co_u32_e32 v15, vcc, 0, v4, vcc
	v_mad_u64_u32 v[3:4], s[0:1], v11, v5, 0
	v_mad_u64_u32 v[12:13], s[0:1], v11, v9, 0
	v_add_co_u32_e32 v3, vcc, v14, v3
	v_addc_co_u32_e32 v3, vcc, v15, v4, vcc
	v_addc_co_u32_e32 v4, vcc, 0, v13, vcc
	v_add_co_u32_e32 v5, vcc, v3, v12
	v_addc_co_u32_e32 v9, vcc, 0, v4, vcc
	v_mul_lo_u32 v12, s25, v5
	v_mul_lo_u32 v13, s24, v9
	v_mad_u64_u32 v[3:4], s[0:1], s24, v5, 0
	v_add3_u32 v4, v4, v13, v12
	v_sub_u32_e32 v12, v11, v4
	v_mov_b32_e32 v13, s25
	v_sub_co_u32_e32 v3, vcc, v10, v3
	v_subb_co_u32_e64 v12, s[0:1], v12, v13, vcc
	v_subrev_co_u32_e64 v13, s[0:1], s24, v3
	v_subbrev_co_u32_e64 v12, s[0:1], 0, v12, s[0:1]
	v_cmp_le_u32_e64 s[0:1], s25, v12
	v_cndmask_b32_e64 v14, 0, -1, s[0:1]
	v_cmp_le_u32_e64 s[0:1], s24, v13
	v_cndmask_b32_e64 v13, 0, -1, s[0:1]
	v_cmp_eq_u32_e64 s[0:1], s25, v12
	v_cndmask_b32_e64 v12, v14, v13, s[0:1]
	v_add_co_u32_e64 v13, s[0:1], 2, v5
	v_addc_co_u32_e64 v14, s[0:1], 0, v9, s[0:1]
	v_add_co_u32_e64 v15, s[0:1], 1, v5
	v_addc_co_u32_e64 v16, s[0:1], 0, v9, s[0:1]
	v_subb_co_u32_e32 v4, vcc, v11, v4, vcc
	v_cmp_ne_u32_e64 s[0:1], 0, v12
	v_cmp_le_u32_e32 vcc, s25, v4
	v_cndmask_b32_e64 v12, v16, v14, s[0:1]
	v_cndmask_b32_e64 v14, 0, -1, vcc
	v_cmp_le_u32_e32 vcc, s24, v3
	v_cndmask_b32_e64 v3, 0, -1, vcc
	v_cmp_eq_u32_e32 vcc, s25, v4
	v_cndmask_b32_e32 v3, v14, v3, vcc
	v_cmp_ne_u32_e32 vcc, 0, v3
	v_cndmask_b32_e64 v3, v15, v13, s[0:1]
	v_cndmask_b32_e32 v4, v9, v12, vcc
	v_cndmask_b32_e32 v3, v5, v3, vcc
.LBB0_4:                                ;   in Loop: Header=BB0_2 Depth=1
	s_andn2_saveexec_b64 s[0:1], s[26:27]
	s_cbranch_execz .LBB0_6
; %bb.5:                                ;   in Loop: Header=BB0_2 Depth=1
	v_cvt_f32_u32_e32 v3, s24
	s_sub_i32 s26, 0, s24
	v_rcp_iflag_f32_e32 v3, v3
	v_mul_f32_e32 v3, 0x4f7ffffe, v3
	v_cvt_u32_f32_e32 v3, v3
	v_mul_lo_u32 v4, s26, v3
	v_mul_hi_u32 v4, v3, v4
	v_add_u32_e32 v3, v3, v4
	v_mul_hi_u32 v3, v10, v3
	v_mul_lo_u32 v4, v3, s24
	v_add_u32_e32 v5, 1, v3
	v_sub_u32_e32 v4, v10, v4
	v_subrev_u32_e32 v9, s24, v4
	v_cmp_le_u32_e32 vcc, s24, v4
	v_cndmask_b32_e32 v4, v4, v9, vcc
	v_cndmask_b32_e32 v3, v3, v5, vcc
	v_add_u32_e32 v5, 1, v3
	v_cmp_le_u32_e32 vcc, s24, v4
	v_cndmask_b32_e32 v3, v3, v5, vcc
	v_mov_b32_e32 v4, v8
.LBB0_6:                                ;   in Loop: Header=BB0_2 Depth=1
	s_or_b64 exec, exec, s[0:1]
	v_mul_lo_u32 v5, v4, s24
	v_mul_lo_u32 v9, v3, s25
	v_mad_u64_u32 v[12:13], s[0:1], v3, s24, 0
	s_load_dwordx2 s[0:1], s[6:7], 0x0
	s_load_dwordx2 s[24:25], s[2:3], 0x0
	v_add3_u32 v5, v13, v9, v5
	v_sub_co_u32_e32 v9, vcc, v10, v12
	v_subb_co_u32_e32 v5, vcc, v11, v5, vcc
	s_waitcnt lgkmcnt(0)
	v_mul_lo_u32 v10, s0, v5
	v_mul_lo_u32 v11, s1, v9
	v_mad_u64_u32 v[6:7], s[0:1], s0, v9, v[6:7]
	s_add_u32 s22, s22, 1
	s_addc_u32 s23, s23, 0
	s_add_u32 s2, s2, 8
	v_mul_lo_u32 v5, s24, v5
	v_mul_lo_u32 v12, s25, v9
	v_mad_u64_u32 v[1:2], s[0:1], s24, v9, v[1:2]
	v_add3_u32 v7, v11, v7, v10
	s_addc_u32 s3, s3, 0
	v_mov_b32_e32 v9, s14
	s_add_u32 s6, s6, 8
	v_mov_b32_e32 v10, s15
	s_addc_u32 s7, s7, 0
	v_cmp_ge_u64_e32 vcc, s[22:23], v[9:10]
	s_add_u32 s20, s20, 8
	v_add3_u32 v2, v12, v2, v5
	s_addc_u32 s21, s21, 0
	s_cbranch_vccnz .LBB0_9
; %bb.7:                                ;   in Loop: Header=BB0_2 Depth=1
	v_mov_b32_e32 v11, v4
	v_mov_b32_e32 v10, v3
	s_branch .LBB0_2
.LBB0_8:
	v_mov_b32_e32 v1, v6
	v_mov_b32_e32 v3, v10
	;; [unrolled: 1-line block ×4, first 2 shown]
.LBB0_9:
	s_load_dwordx2 s[4:5], s[4:5], 0x28
	s_lshl_b64 s[6:7], s[14:15], 3
	s_add_u32 s2, s18, s6
	s_addc_u32 s3, s19, s7
                                        ; implicit-def: $vgpr5
	s_waitcnt lgkmcnt(0)
	v_cmp_gt_u64_e64 s[0:1], s[4:5], v[3:4]
	v_cmp_le_u64_e32 vcc, s[4:5], v[3:4]
	s_and_saveexec_b64 s[4:5], vcc
	s_xor_b64 s[4:5], exec, s[4:5]
; %bb.10:
	s_mov_b32 s14, 0x1a41a42
	v_mul_hi_u32 v5, v0, s14
                                        ; implicit-def: $vgpr6_vgpr7
	v_mul_u32_u24_e32 v5, 0x9c, v5
	v_sub_u32_e32 v5, v0, v5
                                        ; implicit-def: $vgpr0
; %bb.11:
	s_andn2_saveexec_b64 s[4:5], s[4:5]
	s_cbranch_execz .LBB0_13
; %bb.12:
	s_add_u32 s6, s16, s6
	s_addc_u32 s7, s17, s7
	s_load_dwordx2 s[6:7], s[6:7], 0x0
	s_mov_b32 s14, 0x1a41a42
	v_mul_hi_u32 v5, v0, s14
	v_lshlrev_b64 v[6:7], 2, v[6:7]
	s_waitcnt lgkmcnt(0)
	v_mul_lo_u32 v10, s7, v3
	v_mul_lo_u32 v11, s6, v4
	v_mad_u64_u32 v[8:9], s[6:7], s6, v3, 0
	v_mul_u32_u24_e32 v5, 0x9c, v5
	v_sub_u32_e32 v5, v0, v5
	v_add3_u32 v9, v9, v11, v10
	v_lshlrev_b64 v[8:9], 2, v[8:9]
	v_mov_b32_e32 v0, s9
	v_add_co_u32_e32 v8, vcc, s8, v8
	v_addc_co_u32_e32 v0, vcc, v0, v9, vcc
	v_add_co_u32_e32 v6, vcc, v8, v6
	v_addc_co_u32_e32 v0, vcc, v0, v7, vcc
	v_lshlrev_b32_e32 v10, 2, v5
	v_add_co_u32_e32 v6, vcc, v6, v10
	v_addc_co_u32_e32 v7, vcc, 0, v0, vcc
	v_add_co_u32_e32 v8, vcc, 0x1000, v6
	v_addc_co_u32_e32 v9, vcc, 0, v7, vcc
	global_load_dword v0, v[6:7], off
	global_load_dword v11, v[6:7], off offset:624
	global_load_dword v12, v[6:7], off offset:1248
	;; [unrolled: 1-line block ×10, first 2 shown]
	v_add_u32_e32 v6, 0, v10
	v_add_u32_e32 v7, 0x400, v6
	;; [unrolled: 1-line block ×5, first 2 shown]
	s_waitcnt vmcnt(9)
	ds_write2_b32 v6, v0, v11 offset1:156
	s_waitcnt vmcnt(7)
	ds_write2_b32 v7, v12, v13 offset0:56 offset1:212
	s_waitcnt vmcnt(5)
	ds_write2_b32 v8, v14, v15 offset0:48 offset1:204
	;; [unrolled: 2-line block ×4, first 2 shown]
	s_waitcnt vmcnt(0)
	ds_write_b32 v6, v20 offset:6240
.LBB0_13:
	s_or_b64 exec, exec, s[4:5]
	v_lshl_add_u32 v0, v5, 2, 0
	s_waitcnt lgkmcnt(0)
	s_barrier
	ds_read_b32 v27, v0 offset:6336
	ds_read2_b32 v[10:11], v0 offset1:132
	v_add_u32_e32 v20, 0x400, v0
	v_add_u32_e32 v21, 0x1400, v0
	ds_read2_b32 v[8:9], v20 offset0:8 offset1:140
	ds_read2_b32 v[6:7], v21 offset0:40 offset1:172
	s_waitcnt lgkmcnt(2)
	v_pk_add_f16 v23, v11, v27 neg_lo:[0,1] neg_hi:[0,1]
	s_mov_b32 s18, 0xba95
	v_pk_add_f16 v26, v27, v11
	s_movk_i32 s6, 0x388b
	v_mul_f16_sdwa v40, v23, s18 dst_sel:DWORD dst_unused:UNUSED_PAD src0_sel:WORD_1 src1_sel:DWORD
	s_waitcnt lgkmcnt(0)
	v_pk_add_f16 v25, v8, v7 neg_lo:[0,1] neg_hi:[0,1]
	s_mov_b32 s7, 0xbb7b
	v_fma_f16 v12, v26, s6, v40
	v_pk_add_f16 v28, v7, v8
	s_mov_b32 s8, 0xb5ac
	v_mul_f16_sdwa v41, v25, s7 dst_sel:DWORD dst_unused:UNUSED_PAD src0_sel:WORD_1 src1_sel:DWORD
	v_add_f16_e32 v12, v10, v12
	v_fma_f16 v13, v28, s8, v41
	v_lshrrev_b32_e32 v34, 16, v26
	s_movk_i32 s9, 0x2fb7
	v_mul_f16_e32 v45, 0xbbf1, v23
	v_add_f16_e32 v12, v13, v12
	v_fma_f16 v13, v34, s9, -v45
	s_mov_b32 s15, 0xbbc4
	v_lshrrev_b32_e32 v37, 16, v28
	v_mul_f16_e32 v47, 0xb3a8, v25
	s_mov_b32 s14, 0xb3a8
	v_pk_add_f16 v29, v9, v6 neg_lo:[0,1] neg_hi:[0,1]
	v_add_f16_sdwa v13, v10, v13 dst_sel:DWORD dst_unused:UNUSED_PAD src0_sel:WORD_1 src1_sel:DWORD
	v_fma_f16 v14, v37, s15, -v47
	v_pk_add_f16 v30, v6, v9
	v_mul_f16_sdwa v43, v29, s14 dst_sel:DWORD dst_unused:UNUSED_PAD src0_sel:WORD_1 src1_sel:DWORD
	v_add_f16_e32 v16, v14, v13
	v_fma_f16 v13, v30, s15, v43
	v_add_f16_e32 v17, v13, v12
	v_add_u32_e32 v12, 0x800, v0
	ds_read2_b32 v[14:15], v12 offset0:16 offset1:148
	v_add_u32_e32 v12, 0x1000, v0
	ds_read2_b32 v[12:13], v12 offset0:32 offset1:164
	v_lshrrev_b32_e32 v39, 16, v30
	v_mul_f16_e32 v49, 0x3b7b, v29
	s_movk_i32 s24, 0x394e
	v_fma_f16 v18, v39, s8, -v49
	s_waitcnt lgkmcnt(0)
	v_pk_add_f16 v31, v14, v13 neg_lo:[0,1] neg_hi:[0,1]
	s_mov_b32 s17, 0xb9fd
	v_pk_add_f16 v32, v13, v14
	v_mul_f16_sdwa v46, v31, s24 dst_sel:DWORD dst_unused:UNUSED_PAD src0_sel:WORD_1 src1_sel:DWORD
	v_add_f16_e32 v16, v18, v16
	v_fma_f16 v18, v32, s17, v46
	s_movk_i32 s19, 0x3b15
	v_lshrrev_b32_e32 v42, 16, v32
	v_mul_f16_e32 v51, 0x3770, v31
	s_movk_i32 s16, 0x3bf1
	v_pk_add_f16 v33, v15, v12 neg_lo:[0,1] neg_hi:[0,1]
	v_add_f16_e32 v17, v18, v17
	v_fma_f16 v18, v42, s19, -v51
	v_pk_add_f16 v35, v12, v15
	v_mul_f16_sdwa v50, v33, s16 dst_sel:DWORD dst_unused:UNUSED_PAD src0_sel:WORD_1 src1_sel:DWORD
	v_add_f16_e32 v18, v18, v16
	v_fma_f16 v16, v35, s9, v50
	v_add_f16_e32 v19, v16, v17
	v_add_u32_e32 v16, 0xc00, v0
	ds_read2_b32 v[16:17], v16 offset0:24 offset1:156
	v_lshrrev_b32_e32 v44, 16, v35
	v_mul_f16_e32 v53, 0xba95, v33
	s_movk_i32 s20, 0x3770
	v_fma_f16 v22, v44, s6, -v53
	s_waitcnt lgkmcnt(0)
	v_pk_add_f16 v36, v16, v17 neg_lo:[0,1] neg_hi:[0,1]
	v_pk_add_f16 v38, v17, v16
	v_mul_f16_sdwa v52, v36, s20 dst_sel:DWORD dst_unused:UNUSED_PAD src0_sel:WORD_1 src1_sel:DWORD
	v_add_f16_e32 v22, v22, v18
	v_fma_f16 v18, v38, s19, v52
	v_lshrrev_b32_e32 v48, 16, v38
	v_mul_f16_e32 v54, 0xb94e, v36
	v_add_f16_e32 v18, v18, v19
	v_fma_f16 v19, v48, s17, -v54
	s_mov_b32 s4, 0x388b2fb7
	v_add_f16_e32 v19, v19, v22
	s_mov_b32 s5, 0xbbf1ba95
	v_pk_mul_f16 v22, v26, s4
	s_mov_b32 s4, 0xb5acbbc4
	v_pk_fma_f16 v55, v23, s5, v22 op_sel:[0,0,1] op_sel_hi:[1,1,0] neg_lo:[1,0,0] neg_hi:[1,0,0]
	v_pk_fma_f16 v56, v23, s5, v22 op_sel:[0,0,1] op_sel_hi:[1,1,0]
	s_mov_b32 s5, 0xb3a8bb7b
	v_pk_mul_f16 v22, v28, s4
	s_mov_b32 s4, 0xbbc4b5ac
	v_pk_fma_f16 v57, v25, s5, v22 op_sel:[0,0,1] op_sel_hi:[1,1,0] neg_lo:[1,0,0] neg_hi:[1,0,0]
	v_pk_fma_f16 v58, v25, s5, v22 op_sel:[0,0,1] op_sel_hi:[1,1,0]
	;; [unrolled: 5-line block ×4, first 2 shown]
	s_mov_b32 s5, 0xba953bf1
	v_pk_mul_f16 v22, v35, s4
	v_pk_fma_f16 v63, v33, s5, v22 op_sel:[0,0,1] op_sel_hi:[1,1,0] neg_lo:[1,0,0] neg_hi:[1,0,0]
	v_pk_fma_f16 v64, v33, s5, v22 op_sel:[0,0,1] op_sel_hi:[1,1,0]
	v_add_f16_sdwa v22, v10, v55 dst_sel:DWORD dst_unused:UNUSED_PAD src0_sel:WORD_1 src1_sel:DWORD
	v_add_f16_e32 v22, v57, v22
	s_mov_b32 s4, 0x3b15b9fd
	v_add_f16_e32 v22, v59, v22
	s_mov_b32 s5, 0xb94e3770
	v_add_f16_e32 v22, v61, v22
	v_pk_mul_f16 v66, v38, s4
	v_add_f16_e32 v22, v63, v22
	v_pk_fma_f16 v65, v36, s5, v66 op_sel:[0,0,1] op_sel_hi:[1,1,0] neg_lo:[1,0,0] neg_hi:[1,0,0]
	v_add_f16_e32 v24, v65, v22
	v_add_f16_sdwa v22, v10, v56 dst_sel:DWORD dst_unused:UNUSED_PAD src0_sel:DWORD src1_sel:WORD_1
	v_add_f16_sdwa v22, v58, v22 dst_sel:DWORD dst_unused:UNUSED_PAD src0_sel:WORD_1 src1_sel:DWORD
	v_add_f16_sdwa v22, v60, v22 dst_sel:DWORD dst_unused:UNUSED_PAD src0_sel:WORD_1 src1_sel:DWORD
	;; [unrolled: 1-line block ×3, first 2 shown]
	v_pk_fma_f16 v66, v36, s5, v66 op_sel:[0,0,1] op_sel_hi:[1,1,0]
	v_add_f16_sdwa v22, v64, v22 dst_sel:DWORD dst_unused:UNUSED_PAD src0_sel:WORD_1 src1_sel:DWORD
	s_movk_i32 s4, 0x84
	s_mov_b32 s22, 0xbbf1
	s_movk_i32 s25, 0x3b7b
	s_mov_b32 s21, 0xb94e
	v_add_f16_sdwa v22, v66, v22 dst_sel:DWORD dst_unused:UNUSED_PAD src0_sel:WORD_1 src1_sel:DWORD
	v_cmp_gt_u32_e32 vcc, s4, v5
	s_barrier
	s_and_saveexec_b64 s[4:5], vcc
	s_cbranch_execz .LBB0_15
; %bb.14:
	v_mul_f16_e32 v67, 0xb5ac, v34
	v_fma_f16 v68, v23, s25, v67
	v_mul_f16_e32 v69, 0xb9fd, v37
	v_add_f16_sdwa v68, v10, v68 dst_sel:DWORD dst_unused:UNUSED_PAD src0_sel:WORD_1 src1_sel:DWORD
	v_fma_f16 v70, v25, s21, v69
	v_add_f16_e32 v68, v70, v68
	v_mul_f16_e32 v70, 0x3b15, v39
	s_mov_b32 s26, 0xb770
	v_fma_f16 v71, v29, s26, v70
	v_add_f16_e32 v68, v71, v68
	v_mul_f16_e32 v71, 0x2fb7, v42
	v_fma_f16 v72, v31, s16, v71
	v_add_f16_e32 v68, v72, v68
	v_mul_f16_e32 v72, 0xbbc4, v44
	;; [unrolled: 3-line block ×3, first 2 shown]
	v_fma_f16 v74, v36, s18, v73
	v_fma_f16 v67, v23, s7, v67
	v_add_f16_e32 v68, v74, v68
	v_mul_f16_sdwa v74, v23, s7 dst_sel:DWORD dst_unused:UNUSED_PAD src0_sel:WORD_1 src1_sel:DWORD
	v_add_f16_sdwa v67, v10, v67 dst_sel:DWORD dst_unused:UNUSED_PAD src0_sel:WORD_1 src1_sel:DWORD
	v_fma_f16 v69, v25, s24, v69
	v_fma_f16 v75, v26, s8, v74
	v_mul_f16_sdwa v76, v25, s24 dst_sel:DWORD dst_unused:UNUSED_PAD src0_sel:WORD_1 src1_sel:DWORD
	v_add_f16_e32 v67, v69, v67
	v_fma_f16 v69, v29, s20, v70
	v_add_f16_e32 v75, v10, v75
	v_fma_f16 v77, v28, s17, v76
	s_movk_i32 s27, 0x33a8
	v_add_f16_e32 v67, v69, v67
	v_fma_f16 v69, v31, s22, v71
	v_add_f16_e32 v75, v77, v75
	v_mul_f16_sdwa v77, v29, s20 dst_sel:DWORD dst_unused:UNUSED_PAD src0_sel:WORD_1 src1_sel:DWORD
	s_movk_i32 s23, 0x3a95
	v_add_f16_e32 v67, v69, v67
	v_fma_f16 v69, v33, s27, v72
	v_fma_f16 v78, v30, s19, v77
	v_add_f16_e32 v67, v69, v67
	v_fma_f16 v69, v36, s23, v73
	v_add_f16_e32 v75, v78, v75
	v_mul_f16_sdwa v78, v31, s22 dst_sel:DWORD dst_unused:UNUSED_PAD src0_sel:WORD_1 src1_sel:DWORD
	v_add_f16_e32 v67, v69, v67
	v_fma_f16 v69, v26, s8, -v74
	v_fma_f16 v79, v32, s9, v78
	v_add_f16_e32 v69, v10, v69
	v_fma_f16 v70, v28, s17, -v76
	v_add_f16_e32 v75, v79, v75
	v_mul_f16_sdwa v79, v33, s27 dst_sel:DWORD dst_unused:UNUSED_PAD src0_sel:WORD_1 src1_sel:DWORD
	v_add_f16_e32 v69, v70, v69
	v_fma_f16 v70, v30, s19, -v77
	v_fma_f16 v80, v35, s15, v79
	v_add_f16_e32 v69, v70, v69
	v_fma_f16 v70, v32, s9, -v78
	v_add_f16_e32 v75, v80, v75
	v_mul_f16_sdwa v80, v36, s23 dst_sel:DWORD dst_unused:UNUSED_PAD src0_sel:WORD_1 src1_sel:DWORD
	v_add_f16_e32 v69, v70, v69
	v_fma_f16 v71, v35, s15, -v79
	v_add_f16_e32 v69, v71, v69
	v_fma_f16 v72, v38, s6, -v80
	v_add_f16_e32 v69, v72, v69
	v_mul_f16_e32 v72, 0x2fb7, v34
	v_add_f16_e32 v45, v45, v72
	v_mul_f16_e32 v72, 0xbbc4, v37
	v_add_f16_e32 v47, v47, v72
	v_add_f16_sdwa v45, v10, v45 dst_sel:DWORD dst_unused:UNUSED_PAD src0_sel:WORD_1 src1_sel:DWORD
	v_add_f16_e32 v45, v47, v45
	v_mul_f16_e32 v47, 0xb5ac, v39
	v_add_f16_e32 v47, v49, v47
	v_mul_f16_e32 v71, 0x388b, v26
	;; [unrolled: 2-line block ×3, first 2 shown]
	v_mul_f16_e32 v72, 0xb5ac, v28
	v_add_f16_e32 v47, v51, v47
	v_sub_f16_e32 v40, v71, v40
	v_mul_f16_e32 v49, 0xbbc4, v30
	v_add_f16_e32 v45, v47, v45
	v_mul_f16_e32 v47, 0x388b, v44
	v_add_f16_e32 v40, v10, v40
	v_sub_f16_e32 v41, v72, v41
	v_mul_f16_e32 v51, 0xb9fd, v32
	v_add_f16_e32 v47, v53, v47
	v_add_f16_e32 v40, v41, v40
	v_sub_f16_e32 v41, v49, v43
	v_mul_f16_e32 v53, 0x2fb7, v35
	v_add_f16_e32 v45, v47, v45
	v_mul_f16_e32 v47, 0xb9fd, v48
	v_add_f16_e32 v40, v41, v40
	v_sub_f16_e32 v41, v51, v46
	v_add_f16_e32 v47, v54, v47
	v_mul_f16_e32 v54, 0x3b15, v38
	v_add_f16_e32 v40, v41, v40
	v_sub_f16_e32 v41, v53, v50
	v_add_f16_e32 v40, v41, v40
	v_sub_f16_e32 v41, v54, v52
	v_add_f16_e32 v40, v41, v40
	v_mul_f16_e32 v41, 0xb770, v23
	v_fma_f16 v43, v34, s19, v41
	v_mul_f16_e32 v46, 0xba95, v25
	v_add_f16_sdwa v43, v10, v43 dst_sel:DWORD dst_unused:UNUSED_PAD src0_sel:WORD_1 src1_sel:DWORD
	v_fma_f16 v49, v37, s6, v46
	v_add_f16_e32 v43, v49, v43
	v_mul_f16_e32 v49, 0xbbf1, v29
	v_fma_f16 v81, v38, s6, v80
	v_fma_f16 v50, v39, s9, v49
	v_add_f16_e32 v75, v81, v75
	v_mul_f16_e32 v81, 0xb9fd, v34
	v_add_f16_e32 v43, v50, v43
	v_mul_f16_e32 v50, 0xbb7b, v31
	v_fma_f16 v82, v23, s24, v81
	v_mul_f16_e32 v83, 0x2fb7, v37
	v_fma_f16 v51, v42, s8, v50
	v_add_f16_sdwa v82, v10, v82 dst_sel:DWORD dst_unused:UNUSED_PAD src0_sel:WORD_1 src1_sel:DWORD
	v_fma_f16 v84, v25, s22, v83
	v_add_f16_e32 v43, v51, v43
	v_mul_f16_e32 v51, 0xb94e, v33
	v_add_f16_e32 v82, v84, v82
	v_mul_f16_e32 v84, 0x388b, v39
	v_fma_f16 v52, v44, s17, v51
	v_fma_f16 v85, v29, s23, v84
	v_add_f16_e32 v43, v52, v43
	v_mul_f16_e32 v52, 0xb3a8, v36
	v_add_f16_e32 v82, v85, v82
	v_mul_f16_e32 v85, 0xbbc4, v42
	v_fma_f16 v53, v48, s15, v52
	v_fma_f16 v86, v31, s14, v85
	;; [unrolled: 1-line block ×3, first 2 shown]
	s_mov_b32 s24, 0xffff
	v_add_f16_e32 v43, v53, v43
	v_mul_f16_sdwa v53, v23, s26 dst_sel:DWORD dst_unused:UNUSED_PAD src0_sel:WORD_1 src1_sel:DWORD
	v_fma_f16 v34, v34, s19, -v41
	v_add_f16_e32 v82, v86, v82
	v_mul_f16_e32 v86, 0x3b15, v44
	v_add_f16_sdwa v81, v10, v81 dst_sel:DWORD dst_unused:UNUSED_PAD src0_sel:WORD_1 src1_sel:DWORD
	v_fma_f16 v83, v25, s16, v83
	v_add_f16_e32 v45, v47, v45
	v_bfi_b32 v47, s24, v56, v55
	v_bfi_b32 v56, s24, v60, v59
	v_fma_f16 v54, v26, s19, -v53
	v_mul_f16_sdwa v60, v25, s18 dst_sel:DWORD dst_unused:UNUSED_PAD src0_sel:WORD_1 src1_sel:DWORD
	v_pk_add_f16 v11, v10, v11
	v_add_f16_sdwa v34, v10, v34 dst_sel:DWORD dst_unused:UNUSED_PAD src0_sel:WORD_1 src1_sel:DWORD
	v_fma_f16 v37, v37, s6, -v46
	v_fma_f16 v87, v33, s26, v86
	v_add_f16_e32 v81, v83, v81
	v_fma_f16 v83, v29, s18, v84
	v_bfi_b32 v55, s24, v58, v57
	v_bfi_b32 v57, s24, v62, v61
	v_add_f16_e32 v54, v10, v54
	v_fma_f16 v61, v28, s6, -v60
	v_add_f16_e32 v34, v37, v34
	v_fma_f16 v37, v39, s9, -v49
	v_pk_add_f16 v8, v11, v8
	v_add_f16_e32 v82, v87, v82
	v_mul_f16_e32 v87, 0xb5ac, v48
	v_add_f16_e32 v81, v83, v81
	v_fma_f16 v83, v31, s27, v85
	v_add_f16_e32 v54, v61, v54
	v_mul_f16_sdwa v61, v29, s22 dst_sel:DWORD dst_unused:UNUSED_PAD src0_sel:WORD_1 src1_sel:DWORD
	v_add_f16_e32 v34, v37, v34
	v_fma_f16 v37, v42, s8, -v50
	v_pk_add_f16 v8, v8, v9
	v_fma_f16 v88, v36, s25, v87
	v_add_f16_e32 v81, v83, v81
	v_fma_f16 v83, v33, s20, v86
	v_fma_f16 v62, v30, s9, -v61
	v_add_f16_e32 v34, v37, v34
	v_fma_f16 v37, v44, s17, -v51
	v_pk_add_f16 v8, v8, v14
	v_add_f16_e32 v82, v88, v82
	v_mul_f16_sdwa v88, v23, s21 dst_sel:DWORD dst_unused:UNUSED_PAD src0_sel:WORD_1 src1_sel:DWORD
	v_add_f16_e32 v81, v83, v81
	v_fma_f16 v83, v36, s7, v87
	v_add_f16_e32 v54, v62, v54
	v_mul_f16_sdwa v62, v31, s7 dst_sel:DWORD dst_unused:UNUSED_PAD src0_sel:WORD_1 src1_sel:DWORD
	v_add_f16_e32 v34, v37, v34
	v_fma_f16 v37, v48, s15, -v52
	v_pk_add_f16 v8, v8, v15
	v_fma_f16 v89, v26, s17, v88
	v_add_f16_e32 v81, v83, v81
	v_fma_f16 v83, v26, s17, -v88
	v_bfi_b32 v58, s24, v64, v63
	v_fma_f16 v63, v32, s8, -v62
	v_add_f16_e32 v34, v37, v34
	v_fma_f16 v37, v26, s19, v53
	v_pk_add_f16 v8, v8, v16
	v_add_f16_e32 v89, v10, v89
	v_add_f16_e32 v83, v10, v83
	v_alignbit_b32 v70, v10, v10, 16
	v_add_f16_e32 v54, v63, v54
	v_mul_f16_sdwa v63, v33, s21 dst_sel:DWORD dst_unused:UNUSED_PAD src0_sel:WORD_1 src1_sel:DWORD
	v_add_f16_e32 v10, v10, v37
	v_fma_f16 v37, v28, s6, v60
	v_pk_add_f16 v8, v8, v17
	v_fma_f16 v64, v35, s17, -v63
	v_add_f16_e32 v10, v37, v10
	v_fma_f16 v37, v30, s9, v61
	v_pk_add_f16 v8, v8, v12
	v_mul_f16_sdwa v90, v25, s16 dst_sel:DWORD dst_unused:UNUSED_PAD src0_sel:WORD_1 src1_sel:DWORD
	v_add_f16_e32 v54, v64, v54
	v_mul_f16_sdwa v64, v36, s14 dst_sel:DWORD dst_unused:UNUSED_PAD src0_sel:WORD_1 src1_sel:DWORD
	v_add_f16_e32 v10, v37, v10
	v_fma_f16 v37, v32, s8, v62
	v_pk_add_f16 v8, v8, v13
	v_fma_f16 v91, v28, s9, v90
	v_bfi_b32 v59, s24, v66, v65
	v_fma_f16 v65, v38, s15, -v64
	v_add_f16_e32 v10, v37, v10
	v_fma_f16 v37, v35, s17, v63
	v_pk_add_f16 v6, v8, v6
	v_add_f16_e32 v89, v91, v89
	v_mul_f16_sdwa v91, v29, s18 dst_sel:DWORD dst_unused:UNUSED_PAD src0_sel:WORD_1 src1_sel:DWORD
	v_add_f16_e32 v54, v65, v54
	v_add_f16_e32 v10, v37, v10
	v_fma_f16 v37, v38, s15, v64
	v_pk_add_f16 v6, v6, v7
	v_fma_f16 v92, v30, s6, v91
	v_add_f16_e32 v10, v37, v10
	v_mad_u32_u24 v37, v5, 48, v0
	v_pk_add_f16 v6, v6, v27
	v_pack_b32_f16 v7, v54, v43
	v_add_f16_e32 v89, v92, v89
	v_mul_f16_sdwa v92, v31, s27 dst_sel:DWORD dst_unused:UNUSED_PAD src0_sel:WORD_1 src1_sel:DWORD
	ds_write2_b32 v37, v6, v7 offset1:1
	v_pk_add_f16 v6, v70, v47
	v_fma_f16 v93, v32, s15, v92
	v_fma_f16 v84, v28, s9, -v90
	v_pk_add_f16 v6, v55, v6
	v_add_f16_e32 v89, v93, v89
	v_mul_f16_sdwa v93, v33, s20 dst_sel:DWORD dst_unused:UNUSED_PAD src0_sel:WORD_1 src1_sel:DWORD
	v_add_f16_e32 v83, v84, v83
	v_fma_f16 v84, v30, s6, -v91
	v_pk_add_f16 v6, v56, v6
	v_fma_f16 v94, v35, s19, v93
	v_add_f16_e32 v83, v84, v83
	v_fma_f16 v84, v32, s15, -v92
	v_pk_add_f16 v6, v57, v6
	v_add_f16_e32 v89, v94, v89
	v_mul_f16_sdwa v94, v36, s7 dst_sel:DWORD dst_unused:UNUSED_PAD src0_sel:WORD_1 src1_sel:DWORD
	v_add_f16_e32 v83, v84, v83
	v_fma_f16 v84, v35, s19, -v93
	v_pk_add_f16 v6, v58, v6
	v_add_f16_e32 v83, v84, v83
	v_fma_f16 v84, v38, s8, -v94
	v_pk_add_f16 v6, v59, v6
	v_add_f16_e32 v83, v84, v83
	v_alignbit_b32 v7, v45, v6, 16
	v_pack_b32_f16 v6, v40, v6
	ds_write2_b32 v37, v6, v7 offset0:2 offset1:3
	v_pack_b32_f16 v6, v83, v81
	v_pack_b32_f16 v7, v69, v67
	ds_write2_b32 v37, v7, v6 offset0:4 offset1:5
	v_pk_mul_f16 v6, v26, s15 op_sel_hi:[1,0]
	v_pk_fma_f16 v7, v23, s14, v6 op_sel:[0,0,1] op_sel_hi:[1,0,0] neg_lo:[1,0,0] neg_hi:[1,0,0]
	v_pk_mul_f16 v8, v28, s19 op_sel_hi:[1,0]
	v_pk_add_f16 v7, v70, v7
	v_pk_fma_f16 v9, v25, s20, v8 op_sel:[0,0,1] op_sel_hi:[1,0,0] neg_lo:[1,0,0] neg_hi:[1,0,0]
	v_pk_add_f16 v7, v9, v7
	v_pk_mul_f16 v9, v30, s17 op_sel_hi:[1,0]
	v_pk_fma_f16 v11, v29, s21, v9 op_sel:[0,0,1] op_sel_hi:[1,0,0] neg_lo:[1,0,0] neg_hi:[1,0,0]
	v_pk_add_f16 v7, v11, v7
	v_pk_mul_f16 v11, v32, s6 op_sel_hi:[1,0]
	v_pk_fma_f16 v6, v23, s14, v6 op_sel:[0,0,1] op_sel_hi:[1,0,0]
	v_pk_fma_f16 v12, v31, s23, v11 op_sel:[0,0,1] op_sel_hi:[1,0,0] neg_lo:[1,0,0] neg_hi:[1,0,0]
	v_pk_add_f16 v6, v70, v6
	v_pk_fma_f16 v8, v25, s20, v8 op_sel:[0,0,1] op_sel_hi:[1,0,0]
	v_pk_add_f16 v7, v12, v7
	v_pk_mul_f16 v12, v35, s8 op_sel_hi:[1,0]
	v_pk_add_f16 v6, v8, v6
	v_pk_fma_f16 v8, v29, s21, v9 op_sel:[0,0,1] op_sel_hi:[1,0,0]
	v_pk_fma_f16 v13, v33, s7, v12 op_sel:[0,0,1] op_sel_hi:[1,0,0] neg_lo:[1,0,0] neg_hi:[1,0,0]
	v_pk_add_f16 v6, v8, v6
	v_pk_fma_f16 v8, v31, s23, v11 op_sel:[0,0,1] op_sel_hi:[1,0,0]
	v_pk_add_f16 v7, v13, v7
	v_pk_mul_f16 v13, v38, s9 op_sel_hi:[1,0]
	v_pk_add_f16 v6, v8, v6
	v_pk_fma_f16 v8, v33, s7, v12 op_sel:[0,0,1] op_sel_hi:[1,0,0]
	v_pk_fma_f16 v14, v36, s16, v13 op_sel:[0,0,1] op_sel_hi:[1,0,0] neg_lo:[1,0,0] neg_hi:[1,0,0]
	v_pk_add_f16 v6, v8, v6
	v_pk_fma_f16 v8, v36, s16, v13 op_sel:[0,0,1] op_sel_hi:[1,0,0]
	v_fma_f16 v95, v38, s8, v94
	v_pk_add_f16 v7, v14, v7
	v_pk_add_f16 v6, v8, v6
	v_add_f16_e32 v89, v95, v89
	v_alignbit_b32 v8, v7, v6, 16
	v_alignbit_b32 v6, v6, v7, 16
	ds_write2_b32 v37, v6, v8 offset0:6 offset1:7
	v_pack_b32_f16 v6, v75, v68
	v_pack_b32_f16 v7, v89, v82
	s_mov_b32 s6, 0x5040100
	ds_write2_b32 v37, v7, v6 offset0:8 offset1:9
	v_perm_b32 v6, v24, v18, s6
	v_perm_b32 v7, v19, v22, s6
	ds_write2_b32 v37, v7, v6 offset0:10 offset1:11
	v_pack_b32_f16 v6, v10, v34
	ds_write_b32 v37, v6 offset:48
.LBB0_15:
	s_or_b64 exec, exec, s[4:5]
	v_add_u32_e32 v6, 0x980, v0
	v_add_u32_e32 v10, 0xf00, v0
	s_waitcnt lgkmcnt(0)
	s_barrier
	ds_read2_b32 v[8:9], v0 offset1:156
	ds_read2_b32 v[6:7], v6 offset0:16 offset1:250
	ds_read2_b32 v[12:13], v10 offset0:54 offset1:210
	ds_read2_b32 v[10:11], v20 offset0:56 offset1:212
	ds_read2_b32 v[14:15], v21 offset0:46 offset1:202
	s_movk_i32 s4, 0x4e
	v_cmp_gt_u32_e32 vcc, s4, v5
	s_and_saveexec_b64 s[4:5], vcc
	s_cbranch_execz .LBB0_17
; %bb.16:
	ds_read_b32 v22, v0 offset:3120
	ds_read_b32 v18, v0 offset:6552
	s_waitcnt lgkmcnt(1)
	v_lshrrev_b32_e32 v19, 16, v22
	s_waitcnt lgkmcnt(0)
	v_lshrrev_b32_e32 v24, 16, v18
.LBB0_17:
	s_or_b64 exec, exec, s[4:5]
	s_movk_i32 s4, 0x4f
	v_add_u32_e32 v17, 0x138, v5
	v_mul_lo_u16_sdwa v25, v5, s4 dst_sel:DWORD dst_unused:UNUSED_PAD src0_sel:BYTE_0 src1_sel:DWORD
	s_movk_i32 s4, 0x4ec5
	v_mul_u32_u24_sdwa v29, v17, s4 dst_sel:DWORD dst_unused:UNUSED_PAD src0_sel:WORD_0 src1_sel:DWORD
	v_lshrrev_b32_e32 v29, 18, v29
	v_add_u32_e32 v20, 0x1d4, v5
	v_mul_lo_u16_e32 v30, 13, v29
	v_sub_u16_e32 v17, v17, v30
	v_mul_u32_u24_sdwa v30, v20, s4 dst_sel:DWORD dst_unused:UNUSED_PAD src0_sel:WORD_0 src1_sel:DWORD
	v_lshrrev_b32_e32 v30, 18, v30
	v_add_u32_e32 v21, 0x270, v5
	v_mul_lo_u16_e32 v31, 13, v30
	v_sub_u16_e32 v31, v20, v31
	v_mul_u32_u24_sdwa v20, v21, s4 dst_sel:DWORD dst_unused:UNUSED_PAD src0_sel:WORD_0 src1_sel:DWORD
	v_lshrrev_b32_e32 v32, 18, v20
	v_add_u32_e32 v23, 0x30c, v5
	v_mul_lo_u16_e32 v20, 13, v32
	v_add_u32_e32 v16, 0x9c, v5
	v_sub_u16_e32 v33, v21, v20
	v_mul_u32_u24_sdwa v20, v23, s4 dst_sel:DWORD dst_unused:UNUSED_PAD src0_sel:WORD_0 src1_sel:DWORD
	v_mul_u32_u24_sdwa v27, v16, s4 dst_sel:DWORD dst_unused:UNUSED_PAD src0_sel:WORD_0 src1_sel:DWORD
	v_lshrrev_b32_e32 v20, 18, v20
	v_lshrrev_b16_e32 v25, 10, v25
	v_lshrrev_b32_e32 v27, 18, v27
	v_mul_lo_u16_e32 v21, 13, v20
	v_mul_lo_u16_e32 v26, 13, v25
	;; [unrolled: 1-line block ×3, first 2 shown]
	v_sub_u16_e32 v21, v23, v21
	v_sub_u16_e32 v26, v5, v26
	v_sub_u16_e32 v28, v16, v28
	v_lshlrev_b32_e32 v21, 2, v21
	v_mov_b32_e32 v36, 2
	v_lshlrev_b32_e32 v17, 2, v17
	v_lshlrev_b32_e32 v23, 2, v31
	v_lshlrev_b32_e32 v31, 2, v33
	global_load_dword v33, v21, s[12:13]
	global_load_dword v34, v23, s[12:13]
	;; [unrolled: 1-line block ×3, first 2 shown]
	v_lshlrev_b32_sdwa v26, v36, v26 dst_sel:DWORD dst_unused:UNUSED_PAD src0_sel:DWORD src1_sel:BYTE_0
	v_lshlrev_b32_e32 v28, 2, v28
	global_load_dword v36, v17, s[12:13]
	global_load_dword v37, v28, s[12:13]
	;; [unrolled: 1-line block ×3, first 2 shown]
	v_mul_u32_u24_e32 v25, 0x68, v25
	v_mul_u32_u24_e32 v27, 0x68, v27
	;; [unrolled: 1-line block ×3, first 2 shown]
	v_add3_u32 v25, 0, v25, v26
	v_add3_u32 v26, 0, v27, v28
	;; [unrolled: 1-line block ×3, first 2 shown]
	s_load_dwordx2 s[4:5], s[2:3], 0x0
	s_mov_b32 s2, 0xffff
	s_waitcnt vmcnt(0) lgkmcnt(0)
	s_barrier
	v_mul_f16_sdwa v17, v24, v33 dst_sel:DWORD dst_unused:UNUSED_PAD src0_sel:DWORD src1_sel:WORD_1
	v_mul_f16_sdwa v28, v18, v33 dst_sel:DWORD dst_unused:UNUSED_PAD src0_sel:DWORD src1_sel:WORD_1
	v_pk_mul_f16 v29, v34, v14 op_sel:[0,1]
	v_pk_mul_f16 v39, v35, v15 op_sel:[0,1]
	;; [unrolled: 1-line block ×5, first 2 shown]
	v_fma_f16 v17, v18, v33, -v17
	v_fma_f16 v18, v24, v33, v28
	v_pk_fma_f16 v24, v34, v14, v29 op_sel:[0,0,1] op_sel_hi:[1,0,0]
	v_pk_fma_f16 v14, v34, v14, v29 op_sel:[0,0,1] op_sel_hi:[1,0,0] neg_lo:[0,0,1] neg_hi:[0,0,1]
	v_pk_fma_f16 v28, v35, v15, v39 op_sel:[0,0,1] op_sel_hi:[1,0,0]
	v_pk_fma_f16 v15, v35, v15, v39 op_sel:[0,0,1] op_sel_hi:[1,0,0] neg_lo:[0,0,1] neg_hi:[0,0,1]
	v_pk_fma_f16 v29, v36, v13, v40 op_sel:[0,0,1] op_sel_hi:[1,1,0] neg_lo:[0,0,1] neg_hi:[0,0,1]
	v_pk_fma_f16 v33, v36, v13, v40 op_sel:[0,0,1] op_sel_hi:[1,0,0]
	v_pk_fma_f16 v36, v38, v7, v42 op_sel:[0,0,1] op_sel_hi:[1,1,0] neg_lo:[0,0,1] neg_hi:[0,0,1]
	v_pk_fma_f16 v7, v38, v7, v42 op_sel:[0,0,1] op_sel_hi:[1,0,0]
	v_pk_fma_f16 v34, v37, v12, v41 op_sel:[0,0,1] op_sel_hi:[1,1,0] neg_lo:[0,0,1] neg_hi:[0,0,1]
	v_pk_fma_f16 v35, v37, v12, v41 op_sel:[0,0,1] op_sel_hi:[1,0,0]
	v_bfi_b32 v14, s2, v14, v24
	v_bfi_b32 v24, s2, v15, v28
	;; [unrolled: 1-line block ×3, first 2 shown]
	v_sub_f16_e32 v12, v22, v17
	v_sub_f16_e32 v13, v19, v18
	v_bfi_b32 v28, s2, v29, v33
	v_bfi_b32 v29, s2, v34, v35
	v_pk_add_f16 v17, v6, v24 neg_lo:[0,1] neg_hi:[0,1]
	v_pk_add_f16 v24, v8, v7 neg_lo:[0,1] neg_hi:[0,1]
	;; [unrolled: 1-line block ×3, first 2 shown]
	v_fma_f16 v14, v22, 2.0, -v12
	v_fma_f16 v18, v19, 2.0, -v13
	v_pk_add_f16 v19, v10, v28 neg_lo:[0,1] neg_hi:[0,1]
	v_pk_add_f16 v22, v9, v29 neg_lo:[0,1] neg_hi:[0,1]
	v_pk_fma_f16 v8, v8, 2.0, v24 op_sel_hi:[1,0,1] neg_lo:[0,0,1] neg_hi:[0,0,1]
	v_pk_fma_f16 v10, v10, 2.0, v19 op_sel_hi:[1,0,1] neg_lo:[0,0,1] neg_hi:[0,0,1]
	;; [unrolled: 1-line block ×3, first 2 shown]
	ds_write2_b32 v25, v8, v24 offset1:13
	ds_write2_b32 v26, v9, v22 offset1:13
	;; [unrolled: 1-line block ×3, first 2 shown]
	v_mul_u32_u24_e32 v8, 0x68, v30
	v_pk_fma_f16 v7, v11, 2.0, v15 op_sel_hi:[1,0,1] neg_lo:[0,0,1] neg_hi:[0,0,1]
	v_add3_u32 v8, 0, v8, v23
	ds_write2_b32 v8, v7, v15 offset1:13
	v_mul_u32_u24_e32 v8, 0x68, v32
	v_add3_u32 v8, 0, v8, v31
	v_pk_fma_f16 v6, v6, 2.0, v17 op_sel_hi:[1,0,1] neg_lo:[0,0,1] neg_hi:[0,0,1]
	ds_write2_b32 v8, v6, v17 offset1:13
	s_and_saveexec_b64 s[2:3], vcc
	s_cbranch_execz .LBB0_19
; %bb.18:
	v_mul_lo_u16_e32 v8, 26, v20
	v_lshlrev_b32_e32 v8, 2, v8
	s_mov_b32 s6, 0x5040100
	v_add3_u32 v8, 0, v21, v8
	v_perm_b32 v9, v18, v14, s6
	v_perm_b32 v10, v13, v12, s6
	ds_write2_b32 v8, v9, v10 offset1:13
.LBB0_19:
	s_or_b64 exec, exec, s[2:3]
	s_waitcnt lgkmcnt(0)
	s_barrier
	ds_read_b32 v10, v0
	ds_read_b32 v22, v0 offset:1144
	ds_read_b32 v21, v0 offset:2288
	;; [unrolled: 1-line block ×5, first 2 shown]
	s_movk_i32 s2, 0x82
	v_cmp_gt_u32_e64 s[2:3], s2, v5
	v_lshrrev_b32_e32 v8, 16, v15
	v_lshrrev_b32_e32 v9, 16, v6
	s_and_saveexec_b64 s[6:7], s[2:3]
	s_cbranch_execz .LBB0_21
; %bb.20:
	ds_read_b32 v14, v0 offset:5200
	ds_read_b32 v12, v0 offset:6344
	;; [unrolled: 1-line block ×6, first 2 shown]
	s_waitcnt lgkmcnt(5)
	v_lshrrev_b32_e32 v18, 16, v14
	s_waitcnt lgkmcnt(4)
	v_lshrrev_b32_e32 v13, 16, v12
	;; [unrolled: 2-line block ×4, first 2 shown]
.LBB0_21:
	s_or_b64 exec, exec, s[6:7]
	s_movk_i32 s6, 0x4f
	v_mul_lo_u16_sdwa v23, v5, s6 dst_sel:DWORD dst_unused:UNUSED_PAD src0_sel:BYTE_0 src1_sel:DWORD
	v_lshrrev_b16_e32 v27, 11, v23
	v_mul_lo_u16_e32 v23, 26, v27
	v_sub_u16_e32 v28, v5, v23
	v_mov_b32_e32 v23, 5
	v_mul_u32_u24_sdwa v23, v28, v23 dst_sel:DWORD dst_unused:UNUSED_PAD src0_sel:BYTE_0 src1_sel:DWORD
	v_lshlrev_b32_e32 v29, 2, v23
	global_load_dwordx4 v[23:26], v29, s[12:13] offset:52
	global_load_dword v30, v29, s[12:13] offset:68
	v_mov_b32_e32 v36, 2
	s_waitcnt lgkmcnt(4)
	v_lshrrev_b32_e32 v31, 16, v22
	s_waitcnt lgkmcnt(3)
	v_lshrrev_b32_e32 v32, 16, v21
	;; [unrolled: 2-line block ×5, first 2 shown]
	v_mul_u32_u24_e32 v27, 0x270, v27
	v_lshlrev_b32_sdwa v28, v36, v28 dst_sel:DWORD dst_unused:UNUSED_PAD src0_sel:DWORD src1_sel:BYTE_0
	v_add3_u32 v27, 0, v27, v28
	v_lshrrev_b32_e32 v29, 16, v10
	s_movk_i32 s8, 0x3aee
	s_mov_b32 s9, 0xbaee
	s_waitcnt vmcnt(0)
	s_barrier
	v_mul_f16_sdwa v28, v23, v31 dst_sel:DWORD dst_unused:UNUSED_PAD src0_sel:WORD_1 src1_sel:DWORD
	v_mul_f16_sdwa v36, v23, v22 dst_sel:DWORD dst_unused:UNUSED_PAD src0_sel:WORD_1 src1_sel:DWORD
	;; [unrolled: 1-line block ×10, first 2 shown]
	v_fma_f16 v22, v23, v22, -v28
	v_fma_f16 v23, v23, v31, v36
	v_fma_f16 v21, v24, v21, -v37
	v_fma_f16 v24, v24, v32, v38
	;; [unrolled: 2-line block ×5, first 2 shown]
	v_sub_f16_e32 v32, v24, v26
	v_add_f16_e32 v33, v29, v24
	v_add_f16_e32 v24, v24, v26
	;; [unrolled: 1-line block ×3, first 2 shown]
	v_sub_f16_e32 v36, v25, v28
	v_add_f16_e32 v37, v23, v25
	v_add_f16_e32 v25, v25, v28
	;; [unrolled: 1-line block ×4, first 2 shown]
	v_sub_f16_e32 v21, v21, v19
	v_add_f16_e32 v34, v22, v20
	v_sub_f16_e32 v20, v20, v11
	v_fma_f16 v24, v24, -0.5, v29
	v_fma_f16 v22, v35, -0.5, v22
	;; [unrolled: 1-line block ×3, first 2 shown]
	v_add_f16_e32 v19, v30, v19
	v_add_f16_e32 v26, v33, v26
	;; [unrolled: 1-line block ×4, first 2 shown]
	v_fma_f16 v29, v21, s9, v24
	v_fma_f16 v21, v21, s8, v24
	;; [unrolled: 1-line block ×6, first 2 shown]
	v_fma_f16 v10, v31, -0.5, v10
	v_add_f16_e32 v23, v19, v11
	v_add_f16_e32 v31, v26, v28
	v_sub_f16_e32 v11, v19, v11
	v_sub_f16_e32 v19, v26, v28
	v_mul_f16_e32 v28, -0.5, v22
	v_mul_f16_e32 v33, -0.5, v20
	v_fma_f16 v25, v32, s8, v10
	v_fma_f16 v10, v32, s9, v10
	v_mul_f16_e32 v26, 0x3aee, v30
	v_mul_f16_e32 v32, 0xbaee, v24
	v_fma_f16 v20, v20, s8, v28
	v_fma_f16 v22, v22, s9, v33
	v_fma_f16 v24, v24, 0.5, v26
	v_fma_f16 v26, v30, 0.5, v32
	v_add_f16_e32 v30, v10, v20
	v_add_f16_e32 v32, v21, v22
	v_pack_b32_f16 v23, v23, v31
	v_add_f16_e32 v28, v25, v24
	v_add_f16_e32 v31, v29, v26
	v_sub_f16_e32 v24, v25, v24
	v_sub_f16_e32 v10, v10, v20
	;; [unrolled: 1-line block ×4, first 2 shown]
	v_pack_b32_f16 v25, v30, v32
	v_pack_b32_f16 v11, v11, v19
	;; [unrolled: 1-line block ×3, first 2 shown]
	ds_write2_b32 v27, v25, v11 offset0:52 offset1:78
	v_pack_b32_f16 v11, v24, v20
	v_pack_b32_f16 v10, v10, v21
	ds_write2_b32 v27, v23, v22 offset1:26
	ds_write2_b32 v27, v11, v10 offset0:104 offset1:130
	s_and_saveexec_b64 s[6:7], s[2:3]
	s_cbranch_execz .LBB0_23
; %bb.22:
	s_movk_i32 s2, 0x4ec5
	v_mul_u32_u24_sdwa v10, v16, s2 dst_sel:DWORD dst_unused:UNUSED_PAD src0_sel:WORD_0 src1_sel:DWORD
	v_lshrrev_b32_e32 v10, 19, v10
	v_mul_lo_u16_e32 v11, 26, v10
	v_sub_u16_e32 v11, v16, v11
	v_mul_u32_u24_e32 v16, 5, v11
	v_lshlrev_b32_e32 v16, 2, v16
	global_load_dwordx4 v[19:22], v16, s[12:13] offset:52
	global_load_dword v23, v16, s[12:13] offset:68
	v_mul_lo_u16_e32 v10, 0x9c, v10
	v_lshrrev_b32_e32 v24, 16, v17
	v_lshlrev_b32_e32 v10, 2, v10
	v_lshlrev_b32_e32 v11, 2, v11
	v_add3_u32 v10, 0, v11, v10
	v_lshrrev_b32_e32 v16, 16, v7
	s_waitcnt vmcnt(1)
	v_mul_f16_sdwa v11, v9, v20 dst_sel:DWORD dst_unused:UNUSED_PAD src0_sel:DWORD src1_sel:WORD_1
	v_mul_f16_sdwa v25, v18, v22 dst_sel:DWORD dst_unused:UNUSED_PAD src0_sel:DWORD src1_sel:WORD_1
	;; [unrolled: 1-line block ×4, first 2 shown]
	s_waitcnt vmcnt(0)
	v_mul_f16_sdwa v30, v13, v23 dst_sel:DWORD dst_unused:UNUSED_PAD src0_sel:DWORD src1_sel:WORD_1
	v_mul_f16_sdwa v31, v17, v21 dst_sel:DWORD dst_unused:UNUSED_PAD src0_sel:DWORD src1_sel:WORD_1
	;; [unrolled: 1-line block ×6, first 2 shown]
	v_fma_f16 v6, v6, v20, -v11
	v_fma_f16 v11, v14, v22, -v25
	v_fma_f16 v14, v18, v22, v27
	v_fma_f16 v17, v17, v21, -v29
	v_fma_f16 v12, v12, v23, -v30
	v_fma_f16 v18, v24, v21, v31
	v_fma_f16 v13, v13, v23, v32
	;; [unrolled: 1-line block ×3, first 2 shown]
	v_fma_f16 v15, v15, v19, -v28
	v_fma_f16 v8, v8, v19, v33
	v_add_f16_e32 v21, v17, v12
	v_add_f16_e32 v24, v18, v13
	v_sub_f16_e32 v19, v6, v11
	v_add_f16_e32 v20, v9, v14
	v_sub_f16_e32 v22, v18, v13
	v_sub_f16_e32 v23, v17, v12
	v_add_f16_e32 v25, v16, v9
	v_add_f16_e32 v18, v8, v18
	v_add_f16_e32 v26, v6, v11
	v_add_f16_e32 v6, v7, v6
	v_add_f16_e32 v17, v15, v17
	v_fma_f16 v15, v21, -0.5, v15
	v_fma_f16 v8, v24, -0.5, v8
	v_sub_f16_e32 v9, v9, v14
	v_fma_f16 v16, v20, -0.5, v16
	v_add_f16_e32 v14, v25, v14
	v_add_f16_e32 v13, v18, v13
	;; [unrolled: 1-line block ×4, first 2 shown]
	v_fma_f16 v17, v22, s9, v15
	v_fma_f16 v18, v23, s8, v8
	;; [unrolled: 1-line block ×4, first 2 shown]
	v_fma_f16 v7, v26, -0.5, v7
	v_fma_f16 v12, v19, s8, v16
	v_fma_f16 v16, v19, s9, v16
	v_sub_f16_e32 v19, v14, v13
	v_add_f16_e32 v13, v14, v13
	v_mul_f16_e32 v14, 0xbaee, v15
	v_mul_f16_e32 v22, 0x3aee, v8
	v_fma_f16 v20, v9, s9, v7
	v_fma_f16 v7, v9, s8, v7
	v_sub_f16_e32 v9, v6, v11
	v_add_f16_e32 v6, v6, v11
	v_mul_f16_e32 v11, -0.5, v18
	v_mul_f16_e32 v21, -0.5, v17
	v_fma_f16 v8, v8, 0.5, v14
	v_fma_f16 v14, v15, 0.5, v22
	v_pack_b32_f16 v6, v6, v13
	v_pack_b32_f16 v9, v9, v19
	v_fma_f16 v11, v17, s9, v11
	v_fma_f16 v13, v18, s8, v21
	v_sub_f16_e32 v17, v16, v8
	v_sub_f16_e32 v19, v7, v14
	v_add_f16_e32 v8, v16, v8
	v_add_f16_e32 v7, v7, v14
	v_sub_f16_e32 v15, v12, v11
	v_sub_f16_e32 v18, v20, v13
	v_add_f16_e32 v11, v12, v11
	v_add_f16_e32 v12, v20, v13
	v_pack_b32_f16 v7, v7, v8
	v_pack_b32_f16 v8, v12, v11
	;; [unrolled: 1-line block ×4, first 2 shown]
	ds_write2_b32 v10, v6, v7 offset1:26
	ds_write2_b32 v10, v8, v9 offset0:52 offset1:78
	ds_write2_b32 v10, v11, v12 offset0:104 offset1:130
.LBB0_23:
	s_or_b64 exec, exec, s[6:7]
	v_mul_u32_u24_e32 v6, 10, v5
	v_lshlrev_b32_e32 v16, 2, v6
	s_waitcnt lgkmcnt(0)
	s_barrier
	global_load_dwordx4 v[6:9], v16, s[12:13] offset:572
	global_load_dwordx4 v[10:13], v16, s[12:13] offset:588
	global_load_dwordx2 v[14:15], v16, s[12:13] offset:604
	ds_read2_b32 v[16:17], v0 offset1:156
	ds_read_b32 v30, v0 offset:6240
	v_add_u32_e32 v26, 0x400, v0
	v_add_u32_e32 v27, 0x900, v0
	;; [unrolled: 1-line block ×4, first 2 shown]
	ds_read2_b32 v[18:19], v26 offset0:56 offset1:212
	ds_read2_b32 v[20:21], v28 offset0:40 offset1:196
	;; [unrolled: 1-line block ×4, first 2 shown]
	s_waitcnt lgkmcnt(5)
	v_lshrrev_b32_e32 v32, 16, v17
	s_waitcnt lgkmcnt(3)
	v_lshrrev_b32_e32 v37, 16, v18
	v_lshrrev_b32_e32 v31, 16, v30
	;; [unrolled: 1-line block ×3, first 2 shown]
	s_waitcnt lgkmcnt(1)
	v_lshrrev_b32_e32 v39, 16, v22
	v_lshrrev_b32_e32 v40, 16, v23
	;; [unrolled: 1-line block ×4, first 2 shown]
	s_waitcnt lgkmcnt(0)
	v_lshrrev_b32_e32 v35, 16, v24
	v_lshrrev_b32_e32 v36, 16, v25
	s_movk_i32 s2, 0x3abb
	s_movk_i32 s3, 0x36a6
	s_mov_b32 s6, 0xb08e
	s_mov_b32 s7, 0xb93d
	;; [unrolled: 1-line block ×3, first 2 shown]
	s_waitcnt vmcnt(0)
	s_barrier
	v_mul_f16_sdwa v41, v6, v32 dst_sel:DWORD dst_unused:UNUSED_PAD src0_sel:WORD_1 src1_sel:DWORD
	v_mul_f16_sdwa v42, v6, v17 dst_sel:DWORD dst_unused:UNUSED_PAD src0_sel:WORD_1 src1_sel:DWORD
	;; [unrolled: 1-line block ×4, first 2 shown]
	v_fma_f16 v17, v6, v17, -v41
	v_fma_f16 v6, v6, v32, v42
	v_mul_f16_sdwa v45, v8, v38 dst_sel:DWORD dst_unused:UNUSED_PAD src0_sel:WORD_1 src1_sel:DWORD
	v_mul_f16_sdwa v46, v8, v19 dst_sel:DWORD dst_unused:UNUSED_PAD src0_sel:WORD_1 src1_sel:DWORD
	v_mul_f16_sdwa v59, v31, v15 dst_sel:DWORD dst_unused:UNUSED_PAD src0_sel:DWORD src1_sel:WORD_1
	v_mul_f16_sdwa v60, v30, v15 dst_sel:DWORD dst_unused:UNUSED_PAD src0_sel:DWORD src1_sel:WORD_1
	v_fma_f16 v18, v7, v18, -v43
	v_fma_f16 v7, v7, v37, v44
	v_add_f16_sdwa v32, v6, v16 dst_sel:DWORD dst_unused:UNUSED_PAD src0_sel:DWORD src1_sel:WORD_1
	v_mul_f16_sdwa v47, v9, v39 dst_sel:DWORD dst_unused:UNUSED_PAD src0_sel:WORD_1 src1_sel:DWORD
	v_mul_f16_sdwa v48, v9, v22 dst_sel:DWORD dst_unused:UNUSED_PAD src0_sel:WORD_1 src1_sel:DWORD
	v_fma_f16 v19, v8, v19, -v45
	v_fma_f16 v8, v8, v38, v46
	v_fma_f16 v30, v30, v15, -v59
	v_fma_f16 v15, v31, v15, v60
	v_add_f16_e32 v31, v17, v16
	v_add_f16_e32 v32, v32, v7
	v_mul_f16_sdwa v49, v10, v40 dst_sel:DWORD dst_unused:UNUSED_PAD src0_sel:WORD_1 src1_sel:DWORD
	v_mul_f16_sdwa v50, v10, v23 dst_sel:DWORD dst_unused:UNUSED_PAD src0_sel:WORD_1 src1_sel:DWORD
	v_fma_f16 v22, v9, v22, -v47
	v_fma_f16 v9, v9, v39, v48
	v_add_f16_e32 v31, v31, v18
	v_add_f16_e32 v32, v32, v8
	v_mul_f16_sdwa v51, v33, v11 dst_sel:DWORD dst_unused:UNUSED_PAD src0_sel:DWORD src1_sel:WORD_1
	v_mul_f16_sdwa v52, v20, v11 dst_sel:DWORD dst_unused:UNUSED_PAD src0_sel:DWORD src1_sel:WORD_1
	v_fma_f16 v23, v10, v23, -v49
	v_fma_f16 v10, v10, v40, v50
	v_add_f16_e32 v31, v31, v19
	v_add_f16_e32 v32, v32, v9
	v_mul_f16_sdwa v53, v34, v12 dst_sel:DWORD dst_unused:UNUSED_PAD src0_sel:DWORD src1_sel:WORD_1
	v_mul_f16_sdwa v54, v21, v12 dst_sel:DWORD dst_unused:UNUSED_PAD src0_sel:DWORD src1_sel:WORD_1
	v_fma_f16 v20, v20, v11, -v51
	v_fma_f16 v11, v33, v11, v52
	v_add_f16_e32 v31, v31, v22
	v_add_f16_e32 v32, v32, v10
	v_mul_f16_sdwa v55, v35, v13 dst_sel:DWORD dst_unused:UNUSED_PAD src0_sel:DWORD src1_sel:WORD_1
	v_mul_f16_sdwa v56, v24, v13 dst_sel:DWORD dst_unused:UNUSED_PAD src0_sel:DWORD src1_sel:WORD_1
	v_fma_f16 v21, v21, v12, -v53
	v_fma_f16 v12, v34, v12, v54
	v_add_f16_e32 v31, v31, v23
	v_add_f16_e32 v32, v32, v11
	v_mul_f16_sdwa v57, v36, v14 dst_sel:DWORD dst_unused:UNUSED_PAD src0_sel:DWORD src1_sel:WORD_1
	v_mul_f16_sdwa v58, v25, v14 dst_sel:DWORD dst_unused:UNUSED_PAD src0_sel:DWORD src1_sel:WORD_1
	v_fma_f16 v24, v24, v13, -v55
	v_fma_f16 v13, v35, v13, v56
	v_add_f16_e32 v31, v31, v20
	v_add_f16_e32 v32, v32, v12
	v_fma_f16 v25, v25, v14, -v57
	v_fma_f16 v14, v36, v14, v58
	v_add_f16_e32 v31, v31, v21
	v_add_f16_e32 v32, v32, v13
	v_add_f16_e32 v33, v17, v30
	v_add_f16_e32 v34, v6, v15
	v_sub_f16_e32 v17, v17, v30
	v_sub_f16_e32 v6, v6, v15
	v_add_f16_e32 v31, v31, v24
	v_add_f16_e32 v32, v32, v14
	v_mul_f16_e32 v35, 0xb853, v6
	v_add_f16_e32 v31, v31, v25
	v_add_f16_e32 v15, v32, v15
	v_mul_f16_e32 v32, 0xb853, v17
	v_mul_f16_e32 v37, 0xbb47, v6
	;; [unrolled: 1-line block ×9, first 2 shown]
	v_add_f16_e32 v30, v31, v30
	v_fma_f16 v31, v33, s2, -v35
	v_fma_f16 v36, v34, s2, v32
	v_fma_f16 v35, v33, s2, v35
	v_fma_f16 v32, v34, s2, -v32
	v_fma_f16 v38, v33, s3, -v37
	v_fma_f16 v40, v34, s3, v39
	v_fma_f16 v37, v33, s3, v37
	v_fma_f16 v39, v34, s3, -v39
	;; [unrolled: 4-line block ×5, first 2 shown]
	v_add_f16_e32 v33, v7, v14
	v_sub_f16_e32 v7, v7, v14
	v_add_f16_e32 v31, v31, v16
	v_add_f16_sdwa v36, v36, v16 dst_sel:DWORD dst_unused:UNUSED_PAD src0_sel:DWORD src1_sel:WORD_1
	v_add_f16_e32 v35, v35, v16
	v_add_f16_sdwa v32, v32, v16 dst_sel:DWORD dst_unused:UNUSED_PAD src0_sel:DWORD src1_sel:WORD_1
	;; [unrolled: 2-line block ×10, first 2 shown]
	v_add_f16_e32 v17, v18, v25
	v_mul_f16_e32 v14, 0xbb47, v7
	v_sub_f16_e32 v18, v18, v25
	v_fma_f16 v25, v17, s3, -v14
	v_add_f16_e32 v25, v25, v31
	v_mul_f16_e32 v31, 0xbb47, v18
	v_fma_f16 v34, v33, s3, v31
	v_fma_f16 v31, v33, s3, -v31
	v_fma_f16 v14, v17, s3, v14
	v_add_f16_e32 v31, v31, v32
	v_mul_f16_e32 v32, 0xba0c, v7
	v_add_f16_e32 v34, v34, v36
	v_add_f16_e32 v14, v14, v35
	v_fma_f16 v35, v17, s7, -v32
	v_mul_f16_e32 v36, 0xba0c, v18
	v_fma_f16 v32, v17, s7, v32
	v_add_f16_e32 v35, v35, v38
	v_fma_f16 v38, v33, s7, v36
	v_add_f16_e32 v32, v32, v37
	v_fma_f16 v36, v33, s7, -v36
	v_mul_f16_e32 v37, 0x3482, v7
	v_add_f16_e32 v38, v38, v40
	v_add_f16_e32 v36, v36, v39
	v_fma_f16 v39, v17, s8, -v37
	v_mul_f16_e32 v40, 0x3482, v18
	v_fma_f16 v37, v17, s8, v37
	v_add_f16_e32 v39, v39, v42
	v_fma_f16 v42, v33, s8, v40
	v_add_f16_e32 v37, v37, v41
	v_fma_f16 v40, v33, s8, -v40
	v_mul_f16_e32 v41, 0x3beb, v7
	v_add_f16_e32 v40, v40, v43
	v_fma_f16 v43, v17, s6, -v41
	v_fma_f16 v41, v17, s6, v41
	v_mul_f16_e32 v7, 0x3853, v7
	v_add_f16_e32 v42, v42, v44
	v_mul_f16_e32 v44, 0x3beb, v18
	v_add_f16_e32 v41, v41, v45
	v_fma_f16 v45, v17, s2, -v7
	v_mul_f16_e32 v18, 0x3853, v18
	v_fma_f16 v7, v17, s2, v7
	v_add_f16_e32 v43, v43, v46
	v_fma_f16 v46, v33, s6, v44
	v_fma_f16 v44, v33, s6, -v44
	v_add_f16_e32 v6, v7, v6
	v_fma_f16 v7, v33, s2, -v18
	v_add_f16_e32 v17, v8, v13
	v_sub_f16_e32 v8, v8, v13
	v_add_f16_e32 v44, v44, v47
	v_fma_f16 v47, v33, s2, v18
	v_add_f16_e32 v7, v7, v16
	v_add_f16_e32 v16, v19, v24
	v_sub_f16_e32 v18, v19, v24
	v_mul_f16_e32 v13, 0xbbeb, v8
	v_fma_f16 v19, v16, s6, -v13
	v_mul_f16_e32 v24, 0xbbeb, v18
	v_fma_f16 v13, v16, s6, v13
	v_add_f16_e32 v19, v19, v25
	v_fma_f16 v25, v17, s6, v24
	v_add_f16_e32 v13, v13, v14
	v_fma_f16 v14, v17, s6, -v24
	v_mul_f16_e32 v24, 0x3482, v8
	v_add_f16_e32 v14, v14, v31
	v_fma_f16 v31, v16, s8, -v24
	v_mul_f16_e32 v33, 0x3482, v18
	v_fma_f16 v24, v16, s8, v24
	v_add_f16_e32 v25, v25, v34
	v_fma_f16 v34, v17, s8, v33
	v_add_f16_e32 v24, v24, v32
	v_fma_f16 v32, v17, s8, -v33
	v_mul_f16_e32 v33, 0x3b47, v8
	v_add_f16_e32 v31, v31, v35
	v_fma_f16 v35, v16, s3, -v33
	v_fma_f16 v33, v16, s3, v33
	v_add_f16_e32 v32, v32, v36
	v_mul_f16_e32 v36, 0x3b47, v18
	v_add_f16_e32 v33, v33, v37
	v_mul_f16_e32 v37, 0xb853, v8
	v_add_f16_e32 v34, v34, v38
	v_add_f16_e32 v35, v35, v39
	v_fma_f16 v38, v17, s3, v36
	v_fma_f16 v36, v17, s3, -v36
	v_fma_f16 v39, v16, s2, -v37
	v_fma_f16 v37, v16, s2, v37
	v_mul_f16_e32 v8, 0xba0c, v8
	v_add_f16_e32 v36, v36, v40
	v_mul_f16_e32 v40, 0xb853, v18
	v_add_f16_e32 v37, v37, v41
	v_fma_f16 v41, v16, s7, -v8
	v_mul_f16_e32 v18, 0xba0c, v18
	v_fma_f16 v8, v16, s7, v8
	v_add_f16_e32 v6, v8, v6
	v_fma_f16 v8, v17, s7, -v18
	v_add_f16_e32 v16, v9, v12
	v_sub_f16_e32 v9, v9, v12
	v_add_f16_e32 v7, v8, v7
	v_add_f16_e32 v8, v22, v21
	v_mul_f16_e32 v12, 0xba0c, v9
	v_add_f16_e32 v38, v38, v42
	v_add_f16_e32 v39, v39, v43
	v_fma_f16 v42, v17, s2, v40
	v_fma_f16 v40, v17, s2, -v40
	v_fma_f16 v43, v17, s7, v18
	v_sub_f16_e32 v17, v22, v21
	v_fma_f16 v18, v8, s7, -v12
	v_add_f16_e32 v18, v18, v19
	v_mul_f16_e32 v19, 0xba0c, v17
	v_fma_f16 v12, v8, s7, v12
	v_add_f16_e32 v12, v12, v13
	v_fma_f16 v13, v16, s7, -v19
	v_add_f16_e32 v13, v13, v14
	v_mul_f16_e32 v14, 0x3beb, v9
	v_fma_f16 v21, v16, s7, v19
	v_fma_f16 v19, v8, s6, -v14
	v_fma_f16 v14, v8, s6, v14
	v_mul_f16_e32 v22, 0x3beb, v17
	v_add_f16_e32 v14, v14, v24
	v_mul_f16_e32 v24, 0xb853, v9
	v_add_f16_e32 v21, v21, v25
	v_add_f16_e32 v19, v19, v31
	v_fma_f16 v25, v16, s6, v22
	v_fma_f16 v22, v16, s6, -v22
	v_fma_f16 v31, v8, s2, -v24
	v_fma_f16 v24, v8, s2, v24
	v_add_f16_e32 v22, v22, v32
	v_mul_f16_e32 v32, 0xb853, v17
	v_add_f16_e32 v24, v24, v33
	v_mul_f16_e32 v33, 0xb482, v9
	v_add_f16_e32 v25, v25, v34
	v_add_f16_e32 v31, v31, v35
	v_fma_f16 v34, v16, s2, v32
	v_fma_f16 v32, v16, s2, -v32
	v_fma_f16 v35, v8, s8, -v33
	v_fma_f16 v33, v8, s8, v33
	v_mul_f16_e32 v9, 0x3b47, v9
	v_add_f16_e32 v32, v32, v36
	v_mul_f16_e32 v36, 0xb482, v17
	v_add_f16_e32 v33, v33, v37
	v_fma_f16 v37, v8, s3, -v9
	v_mul_f16_e32 v17, 0x3b47, v17
	v_fma_f16 v8, v8, s3, v9
	v_add_f16_e32 v6, v8, v6
	v_fma_f16 v8, v16, s3, -v17
	v_add_f16_e32 v9, v10, v11
	v_sub_f16_e32 v10, v10, v11
	v_add_f16_e32 v7, v8, v7
	v_add_f16_e32 v8, v23, v20
	v_mul_f16_e32 v11, 0xb482, v10
	v_add_f16_e32 v34, v34, v38
	v_add_f16_e32 v35, v35, v39
	v_fma_f16 v38, v16, s8, v36
	v_fma_f16 v36, v16, s8, -v36
	v_fma_f16 v39, v16, s3, v17
	v_sub_f16_e32 v16, v23, v20
	v_fma_f16 v17, v8, s8, -v11
	v_add_f16_e32 v17, v17, v18
	v_mul_f16_e32 v18, 0xb482, v16
	v_fma_f16 v11, v8, s8, v11
	v_add_f16_e32 v11, v11, v12
	v_fma_f16 v12, v9, s8, -v18
	v_add_f16_e32 v12, v12, v13
	v_mul_f16_e32 v13, 0x3853, v10
	v_fma_f16 v20, v9, s8, v18
	v_fma_f16 v18, v8, s2, -v13
	v_add_f16_e32 v18, v18, v19
	v_mul_f16_e32 v19, 0x3853, v16
	v_fma_f16 v13, v8, s2, v13
	v_add_f16_e32 v20, v20, v21
	v_fma_f16 v21, v9, s2, v19
	v_add_f16_e32 v13, v13, v14
	v_fma_f16 v14, v9, s2, -v19
	v_mul_f16_e32 v19, 0xba0c, v10
	v_add_f16_e32 v14, v14, v22
	v_fma_f16 v22, v8, s7, -v19
	v_fma_f16 v19, v8, s7, v19
	v_mul_f16_e32 v23, 0xba0c, v16
	v_add_f16_e32 v19, v19, v24
	v_mul_f16_e32 v24, 0x3b47, v10
	v_add_f16_e32 v21, v21, v25
	v_add_f16_e32 v22, v22, v31
	v_fma_f16 v25, v9, s7, v23
	v_fma_f16 v23, v9, s7, -v23
	v_fma_f16 v31, v8, s3, -v24
	v_fma_f16 v24, v8, s3, v24
	v_mul_f16_e32 v10, 0xbbeb, v10
	v_add_f16_e32 v40, v40, v44
	v_add_f16_e32 v23, v23, v32
	v_mul_f16_e32 v32, 0x3b47, v16
	v_add_f16_e32 v24, v24, v33
	v_fma_f16 v33, v8, s6, -v10
	v_mul_f16_e32 v16, 0xbbeb, v16
	v_fma_f16 v8, v8, s6, v10
	v_add_f16_e32 v46, v46, v48
	v_add_f16_e32 v45, v45, v49
	;; [unrolled: 1-line block ×5, first 2 shown]
	v_fma_f16 v34, v9, s3, v32
	v_fma_f16 v32, v9, s3, -v32
	v_add_f16_e32 v6, v8, v6
	v_fma_f16 v8, v9, s6, -v16
	v_add_f16_e32 v42, v42, v46
	v_add_f16_e32 v41, v41, v45
	;; [unrolled: 1-line block ×9, first 2 shown]
	v_fma_f16 v35, v9, s6, v16
	v_pack_b32_f16 v8, v30, v15
	v_pack_b32_f16 v9, v17, v20
	;; [unrolled: 1-line block ×4, first 2 shown]
	v_add_f16_e32 v34, v34, v38
	v_add_f16_e32 v33, v33, v37
	;; [unrolled: 1-line block ×3, first 2 shown]
	ds_write2_b32 v0, v8, v9 offset1:156
	v_pack_b32_f16 v8, v18, v21
	v_pack_b32_f16 v9, v22, v25
	ds_write2_b32 v28, v6, v7 offset0:40 offset1:196
	v_pack_b32_f16 v6, v19, v23
	v_pack_b32_f16 v7, v13, v14
	ds_write2_b32 v26, v8, v9 offset0:56 offset1:212
	;; [unrolled: 3-line block ×3, first 2 shown]
	v_pack_b32_f16 v6, v11, v12
	ds_write2_b32 v27, v8, v9 offset0:48 offset1:204
	ds_write_b32 v0, v6 offset:6240
	s_waitcnt lgkmcnt(0)
	s_barrier
	ds_read_b32 v12, v0
	s_add_u32 s8, s12, 0x1a9c
	v_lshlrev_b32_e32 v6, 2, v5
	s_addc_u32 s9, s13, 0
	v_sub_u32_e32 v8, 0, v6
	v_cmp_ne_u32_e64 s[2:3], 0, v5
                                        ; implicit-def: $vgpr11
                                        ; implicit-def: $vgpr10
                                        ; implicit-def: $vgpr9
                                        ; implicit-def: $vgpr6_vgpr7
	s_and_saveexec_b64 s[6:7], s[2:3]
	s_xor_b64 s[6:7], exec, s[6:7]
	s_cbranch_execz .LBB0_25
; %bb.24:
	v_mov_b32_e32 v6, 0
	v_lshlrev_b64 v[9:10], 2, v[5:6]
	v_mov_b32_e32 v7, s9
	v_add_co_u32_e64 v9, s[2:3], s8, v9
	v_addc_co_u32_e64 v10, s[2:3], v7, v10, s[2:3]
	global_load_dword v7, v[9:10], off
	ds_read_b32 v9, v8 offset:6864
	s_waitcnt lgkmcnt(0)
	v_add_f16_sdwa v11, v9, v12 dst_sel:DWORD dst_unused:UNUSED_PAD src0_sel:WORD_1 src1_sel:WORD_1
	v_sub_f16_e32 v13, v12, v9
	v_add_f16_e32 v10, v9, v12
	v_sub_f16_sdwa v9, v12, v9 dst_sel:DWORD dst_unused:UNUSED_PAD src0_sel:WORD_1 src1_sel:WORD_1
	v_mul_f16_e32 v12, 0.5, v11
	v_mul_f16_e32 v11, 0.5, v13
	;; [unrolled: 1-line block ×3, first 2 shown]
	s_waitcnt vmcnt(0)
	v_lshrrev_b32_e32 v13, 16, v7
	v_mul_f16_e32 v14, v13, v11
	v_fma_f16 v15, v12, v13, v9
	v_fma_f16 v13, v12, v13, -v9
	v_fma_f16 v16, v10, 0.5, v14
	v_fma_f16 v10, v10, 0.5, -v14
	v_fma_f16 v9, -v7, v11, v15
	v_fma_f16 v11, -v7, v11, v13
	v_fma_f16 v13, v7, v12, v16
	v_fma_f16 v10, -v7, v12, v10
	v_mov_b32_e32 v7, v6
	ds_write_b16 v0, v13
	v_mov_b32_e32 v6, v5
                                        ; implicit-def: $vgpr12
.LBB0_25:
	s_andn2_saveexec_b64 s[2:3], s[6:7]
	s_cbranch_execz .LBB0_27
; %bb.26:
	v_mov_b32_e32 v9, 0
	ds_read_u16 v11, v9 offset:3434
	v_mov_b32_e32 v6, 0
	s_waitcnt lgkmcnt(1)
	v_add_f16_sdwa v13, v12, v12 dst_sel:DWORD dst_unused:UNUSED_PAD src0_sel:WORD_1 src1_sel:DWORD
	v_sub_f16_sdwa v10, v12, v12 dst_sel:DWORD dst_unused:UNUSED_PAD src0_sel:DWORD src1_sel:WORD_1
	v_mov_b32_e32 v7, 0
	s_waitcnt lgkmcnt(0)
	v_xor_b32_e32 v11, 0x8000, v11
	ds_write_b16 v9, v11 offset:3434
	v_mov_b32_e32 v11, 0
	ds_write_b16 v0, v13
.LBB0_27:
	s_or_b64 exec, exec, s[2:3]
	v_lshlrev_b64 v[6:7], 2, v[6:7]
	s_waitcnt lgkmcnt(0)
	v_mov_b32_e32 v12, s9
	v_add_co_u32_e64 v6, s[2:3], s8, v6
	v_addc_co_u32_e64 v7, s[2:3], v12, v7, s[2:3]
	global_load_dword v12, v[6:7], off offset:624
	global_load_dword v13, v[6:7], off offset:1248
	;; [unrolled: 1-line block ×3, first 2 shown]
	s_mov_b32 s2, 0x5040100
	ds_write_b16 v0, v9 offset:2
	v_perm_b32 v9, v11, v10, s2
	ds_write_b32 v8, v9 offset:6864
	ds_read_b32 v9, v0 offset:624
	ds_read_b32 v10, v8 offset:6240
	global_load_dword v11, v[6:7], off offset:2496
	s_mov_b32 s6, 0xffff
	s_waitcnt lgkmcnt(0)
	v_pk_add_f16 v15, v9, v10 neg_lo:[0,1] neg_hi:[0,1]
	v_pk_add_f16 v9, v9, v10
	v_bfi_b32 v10, s6, v15, v9
	v_bfi_b32 v9, s6, v9, v15
	v_pk_mul_f16 v10, v10, 0.5 op_sel_hi:[1,0]
	v_pk_mul_f16 v9, v9, 0.5 op_sel_hi:[1,0]
	s_waitcnt vmcnt(3)
	v_pk_fma_f16 v15, v12, v10, v9 op_sel:[1,0,0]
	v_pk_mul_f16 v16, v12, v10 op_sel_hi:[0,1]
	v_pk_fma_f16 v17, v12, v10, v9 op_sel:[1,0,0] neg_lo:[1,0,0] neg_hi:[1,0,0]
	v_pk_fma_f16 v9, v12, v10, v9 op_sel:[1,0,0] neg_lo:[0,0,1] neg_hi:[0,0,1]
	v_pk_add_f16 v10, v15, v16 op_sel:[0,1] op_sel_hi:[1,0]
	v_pk_add_f16 v12, v15, v16 op_sel:[0,1] op_sel_hi:[1,0] neg_lo:[0,1] neg_hi:[0,1]
	v_pk_add_f16 v15, v17, v16 op_sel:[0,1] op_sel_hi:[1,0] neg_lo:[0,1] neg_hi:[0,1]
	v_pk_add_f16 v9, v9, v16 op_sel:[0,1] op_sel_hi:[1,0] neg_lo:[0,1] neg_hi:[0,1]
	v_bfi_b32 v10, s6, v10, v12
	v_bfi_b32 v9, s6, v15, v9
	ds_write_b32 v0, v10 offset:624
	ds_write_b32 v8, v9 offset:6240
	ds_read_b32 v9, v0 offset:1248
	ds_read_b32 v10, v8 offset:5616
	s_waitcnt lgkmcnt(0)
	v_pk_add_f16 v12, v9, v10 neg_lo:[0,1] neg_hi:[0,1]
	v_pk_add_f16 v9, v9, v10
	v_bfi_b32 v10, s6, v12, v9
	v_bfi_b32 v9, s6, v9, v12
	v_pk_mul_f16 v10, v10, 0.5 op_sel_hi:[1,0]
	v_pk_mul_f16 v9, v9, 0.5 op_sel_hi:[1,0]
	s_waitcnt vmcnt(2)
	v_pk_fma_f16 v12, v13, v10, v9 op_sel:[1,0,0]
	v_pk_mul_f16 v15, v13, v10 op_sel_hi:[0,1]
	v_pk_fma_f16 v16, v13, v10, v9 op_sel:[1,0,0] neg_lo:[1,0,0] neg_hi:[1,0,0]
	v_pk_fma_f16 v9, v13, v10, v9 op_sel:[1,0,0] neg_lo:[0,0,1] neg_hi:[0,0,1]
	v_pk_add_f16 v10, v12, v15 op_sel:[0,1] op_sel_hi:[1,0]
	v_pk_add_f16 v12, v12, v15 op_sel:[0,1] op_sel_hi:[1,0] neg_lo:[0,1] neg_hi:[0,1]
	v_pk_add_f16 v13, v16, v15 op_sel:[0,1] op_sel_hi:[1,0] neg_lo:[0,1] neg_hi:[0,1]
	v_pk_add_f16 v9, v9, v15 op_sel:[0,1] op_sel_hi:[1,0] neg_lo:[0,1] neg_hi:[0,1]
	v_bfi_b32 v10, s6, v10, v12
	v_bfi_b32 v9, s6, v13, v9
	ds_write_b32 v0, v10 offset:1248
	ds_write_b32 v8, v9 offset:5616
	ds_read_b32 v9, v0 offset:1872
	ds_read_b32 v10, v8 offset:4992
	s_waitcnt lgkmcnt(0)
	v_pk_add_f16 v12, v9, v10 neg_lo:[0,1] neg_hi:[0,1]
	v_pk_add_f16 v9, v9, v10
	v_bfi_b32 v10, s6, v12, v9
	v_bfi_b32 v9, s6, v9, v12
	v_pk_mul_f16 v10, v10, 0.5 op_sel_hi:[1,0]
	v_pk_mul_f16 v9, v9, 0.5 op_sel_hi:[1,0]
	s_waitcnt vmcnt(1)
	v_pk_fma_f16 v12, v14, v10, v9 op_sel:[1,0,0]
	v_pk_mul_f16 v13, v14, v10 op_sel_hi:[0,1]
	v_pk_fma_f16 v15, v14, v10, v9 op_sel:[1,0,0] neg_lo:[1,0,0] neg_hi:[1,0,0]
	v_pk_fma_f16 v9, v14, v10, v9 op_sel:[1,0,0] neg_lo:[0,0,1] neg_hi:[0,0,1]
	v_pk_add_f16 v10, v12, v13 op_sel:[0,1] op_sel_hi:[1,0]
	v_pk_add_f16 v12, v12, v13 op_sel:[0,1] op_sel_hi:[1,0] neg_lo:[0,1] neg_hi:[0,1]
	v_pk_add_f16 v14, v15, v13 op_sel:[0,1] op_sel_hi:[1,0] neg_lo:[0,1] neg_hi:[0,1]
	v_pk_add_f16 v9, v9, v13 op_sel:[0,1] op_sel_hi:[1,0] neg_lo:[0,1] neg_hi:[0,1]
	v_bfi_b32 v10, s6, v10, v12
	v_bfi_b32 v9, s6, v14, v9
	ds_write_b32 v0, v10 offset:1872
	ds_write_b32 v8, v9 offset:4992
	ds_read_b32 v9, v0 offset:2496
	ds_read_b32 v10, v8 offset:4368
	s_waitcnt lgkmcnt(0)
	v_pk_add_f16 v12, v9, v10 neg_lo:[0,1] neg_hi:[0,1]
	v_pk_add_f16 v9, v9, v10
	v_bfi_b32 v10, s6, v12, v9
	v_bfi_b32 v9, s6, v9, v12
	v_pk_mul_f16 v10, v10, 0.5 op_sel_hi:[1,0]
	v_pk_mul_f16 v9, v9, 0.5 op_sel_hi:[1,0]
	s_waitcnt vmcnt(0)
	v_pk_fma_f16 v12, v11, v10, v9 op_sel:[1,0,0]
	v_pk_mul_f16 v13, v11, v10 op_sel_hi:[0,1]
	v_pk_fma_f16 v14, v11, v10, v9 op_sel:[1,0,0] neg_lo:[1,0,0] neg_hi:[1,0,0]
	v_pk_fma_f16 v9, v11, v10, v9 op_sel:[1,0,0] neg_lo:[0,0,1] neg_hi:[0,0,1]
	v_pk_add_f16 v10, v12, v13 op_sel:[0,1] op_sel_hi:[1,0]
	v_pk_add_f16 v11, v12, v13 op_sel:[0,1] op_sel_hi:[1,0] neg_lo:[0,1] neg_hi:[0,1]
	v_pk_add_f16 v12, v14, v13 op_sel:[0,1] op_sel_hi:[1,0] neg_lo:[0,1] neg_hi:[0,1]
	;; [unrolled: 1-line block ×3, first 2 shown]
	v_bfi_b32 v10, s6, v10, v11
	v_bfi_b32 v9, s6, v12, v9
	ds_write_b32 v0, v10 offset:2496
	ds_write_b32 v8, v9 offset:4368
	s_and_saveexec_b64 s[2:3], vcc
	s_cbranch_execz .LBB0_29
; %bb.28:
	global_load_dword v6, v[6:7], off offset:3120
	ds_read_b32 v7, v0 offset:3120
	ds_read_b32 v9, v8 offset:3744
	s_waitcnt lgkmcnt(0)
	v_pk_add_f16 v10, v7, v9 neg_lo:[0,1] neg_hi:[0,1]
	v_pk_add_f16 v7, v7, v9
	v_bfi_b32 v9, s6, v10, v7
	v_bfi_b32 v7, s6, v7, v10
	v_pk_mul_f16 v9, v9, 0.5 op_sel_hi:[1,0]
	v_pk_mul_f16 v7, v7, 0.5 op_sel_hi:[1,0]
	s_waitcnt vmcnt(0)
	v_pk_fma_f16 v10, v6, v9, v7 op_sel:[1,0,0]
	v_pk_mul_f16 v11, v6, v9 op_sel_hi:[0,1]
	v_pk_fma_f16 v12, v6, v9, v7 op_sel:[1,0,0] neg_lo:[1,0,0] neg_hi:[1,0,0]
	v_pk_fma_f16 v6, v6, v9, v7 op_sel:[1,0,0] neg_lo:[0,0,1] neg_hi:[0,0,1]
	v_pk_add_f16 v7, v10, v11 op_sel:[0,1] op_sel_hi:[1,0]
	v_pk_add_f16 v9, v10, v11 op_sel:[0,1] op_sel_hi:[1,0] neg_lo:[0,1] neg_hi:[0,1]
	v_pk_add_f16 v10, v12, v11 op_sel:[0,1] op_sel_hi:[1,0] neg_lo:[0,1] neg_hi:[0,1]
	;; [unrolled: 1-line block ×3, first 2 shown]
	v_bfi_b32 v7, s6, v7, v9
	v_bfi_b32 v6, s6, v10, v6
	ds_write_b32 v0, v7 offset:3120
	ds_write_b32 v8, v6 offset:3744
.LBB0_29:
	s_or_b64 exec, exec, s[2:3]
	s_waitcnt lgkmcnt(0)
	s_barrier
	s_and_saveexec_b64 s[2:3], s[0:1]
	s_cbranch_execz .LBB0_32
; %bb.30:
	v_mul_lo_u32 v0, s5, v3
	v_mul_lo_u32 v6, s4, v4
	v_mad_u64_u32 v[3:4], s[0:1], s4, v3, 0
	v_lshlrev_b64 v[1:2], 2, v[1:2]
	v_lshl_add_u32 v9, v5, 2, 0
	v_add3_u32 v4, v4, v6, v0
	v_lshlrev_b64 v[3:4], 2, v[3:4]
	v_mov_b32_e32 v0, s11
	v_add_co_u32_e32 v3, vcc, s10, v3
	v_addc_co_u32_e32 v0, vcc, v0, v4, vcc
	v_mov_b32_e32 v6, 0
	ds_read2_b32 v[7:8], v9 offset1:156
	v_add_co_u32_e32 v1, vcc, v3, v1
	v_addc_co_u32_e32 v0, vcc, v0, v2, vcc
	v_lshlrev_b64 v[2:3], 2, v[5:6]
	v_add_u32_e32 v4, 0x400, v9
	v_add_co_u32_e32 v2, vcc, v1, v2
	v_addc_co_u32_e32 v3, vcc, v0, v3, vcc
	s_waitcnt lgkmcnt(0)
	global_store_dword v[2:3], v7, off
	v_add_u32_e32 v2, 0x9c, v5
	v_mov_b32_e32 v3, v6
	v_lshlrev_b64 v[2:3], 2, v[2:3]
	s_movk_i32 s0, 0x9b
	v_add_co_u32_e32 v2, vcc, v1, v2
	v_addc_co_u32_e32 v3, vcc, v0, v3, vcc
	global_store_dword v[2:3], v8, off
	v_add_u32_e32 v2, 0x138, v5
	v_mov_b32_e32 v3, v6
	ds_read2_b32 v[7:8], v4 offset0:56 offset1:212
	v_lshlrev_b64 v[2:3], 2, v[2:3]
	v_add_u32_e32 v4, 0x900, v9
	v_add_co_u32_e32 v2, vcc, v1, v2
	v_addc_co_u32_e32 v3, vcc, v0, v3, vcc
	s_waitcnt lgkmcnt(0)
	global_store_dword v[2:3], v7, off
	v_add_u32_e32 v2, 0x1d4, v5
	v_mov_b32_e32 v3, v6
	v_lshlrev_b64 v[2:3], 2, v[2:3]
	v_add_co_u32_e32 v2, vcc, v1, v2
	v_addc_co_u32_e32 v3, vcc, v0, v3, vcc
	global_store_dword v[2:3], v8, off
	v_add_u32_e32 v2, 0x270, v5
	v_mov_b32_e32 v3, v6
	ds_read2_b32 v[7:8], v4 offset0:48 offset1:204
	v_lshlrev_b64 v[2:3], 2, v[2:3]
	v_add_u32_e32 v4, 0xe00, v9
	v_add_co_u32_e32 v2, vcc, v1, v2
	v_addc_co_u32_e32 v3, vcc, v0, v3, vcc
	s_waitcnt lgkmcnt(0)
	global_store_dword v[2:3], v7, off
	v_add_u32_e32 v2, 0x30c, v5
	v_mov_b32_e32 v3, v6
	v_lshlrev_b64 v[2:3], 2, v[2:3]
	;; [unrolled: 15-line block ×3, first 2 shown]
	v_add_co_u32_e32 v2, vcc, v1, v2
	v_addc_co_u32_e32 v3, vcc, v0, v3, vcc
	global_store_dword v[2:3], v8, off
	v_add_u32_e32 v2, 0x4e0, v5
	v_mov_b32_e32 v3, v6
	ds_read2_b32 v[7:8], v4 offset0:96 offset1:252
	v_lshlrev_b64 v[2:3], 2, v[2:3]
	ds_read_b32 v4, v9 offset:6240
	v_add_co_u32_e32 v2, vcc, v1, v2
	v_addc_co_u32_e32 v3, vcc, v0, v3, vcc
	s_waitcnt lgkmcnt(1)
	global_store_dword v[2:3], v7, off
	v_add_u32_e32 v2, 0x57c, v5
	v_mov_b32_e32 v3, v6
	v_lshlrev_b64 v[2:3], 2, v[2:3]
	v_add_co_u32_e32 v2, vcc, v1, v2
	v_addc_co_u32_e32 v3, vcc, v0, v3, vcc
	global_store_dword v[2:3], v8, off
	v_add_u32_e32 v2, 0x618, v5
	v_mov_b32_e32 v3, v6
	v_lshlrev_b64 v[2:3], 2, v[2:3]
	v_add_co_u32_e32 v2, vcc, v1, v2
	v_addc_co_u32_e32 v3, vcc, v0, v3, vcc
	v_cmp_eq_u32_e32 vcc, s0, v5
	s_waitcnt lgkmcnt(0)
	global_store_dword v[2:3], v4, off
	s_and_b64 exec, exec, vcc
	s_cbranch_execz .LBB0_32
; %bb.31:
	ds_read_b32 v3, v6 offset:6864
	v_add_co_u32_e32 v1, vcc, 0x1000, v1
	v_addc_co_u32_e32 v2, vcc, 0, v0, vcc
	s_waitcnt lgkmcnt(0)
	global_store_dword v[1:2], v3, off offset:2768
.LBB0_32:
	s_endpgm
	.section	.rodata,"a",@progbits
	.p2align	6, 0x0
	.amdhsa_kernel fft_rtc_fwd_len1716_factors_13_2_6_11_wgs_156_tpt_156_half_op_CI_CI_unitstride_sbrr_R2C_dirReg
		.amdhsa_group_segment_fixed_size 0
		.amdhsa_private_segment_fixed_size 0
		.amdhsa_kernarg_size 104
		.amdhsa_user_sgpr_count 6
		.amdhsa_user_sgpr_private_segment_buffer 1
		.amdhsa_user_sgpr_dispatch_ptr 0
		.amdhsa_user_sgpr_queue_ptr 0
		.amdhsa_user_sgpr_kernarg_segment_ptr 1
		.amdhsa_user_sgpr_dispatch_id 0
		.amdhsa_user_sgpr_flat_scratch_init 0
		.amdhsa_user_sgpr_private_segment_size 0
		.amdhsa_uses_dynamic_stack 0
		.amdhsa_system_sgpr_private_segment_wavefront_offset 0
		.amdhsa_system_sgpr_workgroup_id_x 1
		.amdhsa_system_sgpr_workgroup_id_y 0
		.amdhsa_system_sgpr_workgroup_id_z 0
		.amdhsa_system_sgpr_workgroup_info 0
		.amdhsa_system_vgpr_workitem_id 0
		.amdhsa_next_free_vgpr 96
		.amdhsa_next_free_sgpr 28
		.amdhsa_reserve_vcc 1
		.amdhsa_reserve_flat_scratch 0
		.amdhsa_float_round_mode_32 0
		.amdhsa_float_round_mode_16_64 0
		.amdhsa_float_denorm_mode_32 3
		.amdhsa_float_denorm_mode_16_64 3
		.amdhsa_dx10_clamp 1
		.amdhsa_ieee_mode 1
		.amdhsa_fp16_overflow 0
		.amdhsa_exception_fp_ieee_invalid_op 0
		.amdhsa_exception_fp_denorm_src 0
		.amdhsa_exception_fp_ieee_div_zero 0
		.amdhsa_exception_fp_ieee_overflow 0
		.amdhsa_exception_fp_ieee_underflow 0
		.amdhsa_exception_fp_ieee_inexact 0
		.amdhsa_exception_int_div_zero 0
	.end_amdhsa_kernel
	.text
.Lfunc_end0:
	.size	fft_rtc_fwd_len1716_factors_13_2_6_11_wgs_156_tpt_156_half_op_CI_CI_unitstride_sbrr_R2C_dirReg, .Lfunc_end0-fft_rtc_fwd_len1716_factors_13_2_6_11_wgs_156_tpt_156_half_op_CI_CI_unitstride_sbrr_R2C_dirReg
                                        ; -- End function
	.section	.AMDGPU.csdata,"",@progbits
; Kernel info:
; codeLenInByte = 11100
; NumSgprs: 32
; NumVgprs: 96
; ScratchSize: 0
; MemoryBound: 0
; FloatMode: 240
; IeeeMode: 1
; LDSByteSize: 0 bytes/workgroup (compile time only)
; SGPRBlocks: 3
; VGPRBlocks: 23
; NumSGPRsForWavesPerEU: 32
; NumVGPRsForWavesPerEU: 96
; Occupancy: 2
; WaveLimiterHint : 1
; COMPUTE_PGM_RSRC2:SCRATCH_EN: 0
; COMPUTE_PGM_RSRC2:USER_SGPR: 6
; COMPUTE_PGM_RSRC2:TRAP_HANDLER: 0
; COMPUTE_PGM_RSRC2:TGID_X_EN: 1
; COMPUTE_PGM_RSRC2:TGID_Y_EN: 0
; COMPUTE_PGM_RSRC2:TGID_Z_EN: 0
; COMPUTE_PGM_RSRC2:TIDIG_COMP_CNT: 0
	.type	__hip_cuid_3c79554d9ca8f4ef,@object ; @__hip_cuid_3c79554d9ca8f4ef
	.section	.bss,"aw",@nobits
	.globl	__hip_cuid_3c79554d9ca8f4ef
__hip_cuid_3c79554d9ca8f4ef:
	.byte	0                               ; 0x0
	.size	__hip_cuid_3c79554d9ca8f4ef, 1

	.ident	"AMD clang version 19.0.0git (https://github.com/RadeonOpenCompute/llvm-project roc-6.4.0 25133 c7fe45cf4b819c5991fe208aaa96edf142730f1d)"
	.section	".note.GNU-stack","",@progbits
	.addrsig
	.addrsig_sym __hip_cuid_3c79554d9ca8f4ef
	.amdgpu_metadata
---
amdhsa.kernels:
  - .args:
      - .actual_access:  read_only
        .address_space:  global
        .offset:         0
        .size:           8
        .value_kind:     global_buffer
      - .offset:         8
        .size:           8
        .value_kind:     by_value
      - .actual_access:  read_only
        .address_space:  global
        .offset:         16
        .size:           8
        .value_kind:     global_buffer
      - .actual_access:  read_only
        .address_space:  global
        .offset:         24
        .size:           8
        .value_kind:     global_buffer
      - .actual_access:  read_only
        .address_space:  global
        .offset:         32
        .size:           8
        .value_kind:     global_buffer
      - .offset:         40
        .size:           8
        .value_kind:     by_value
      - .actual_access:  read_only
        .address_space:  global
        .offset:         48
        .size:           8
        .value_kind:     global_buffer
      - .actual_access:  read_only
        .address_space:  global
        .offset:         56
        .size:           8
        .value_kind:     global_buffer
      - .offset:         64
        .size:           4
        .value_kind:     by_value
      - .actual_access:  read_only
        .address_space:  global
        .offset:         72
        .size:           8
        .value_kind:     global_buffer
      - .actual_access:  read_only
        .address_space:  global
        .offset:         80
        .size:           8
        .value_kind:     global_buffer
      - .actual_access:  read_only
        .address_space:  global
        .offset:         88
        .size:           8
        .value_kind:     global_buffer
      - .actual_access:  write_only
        .address_space:  global
        .offset:         96
        .size:           8
        .value_kind:     global_buffer
    .group_segment_fixed_size: 0
    .kernarg_segment_align: 8
    .kernarg_segment_size: 104
    .language:       OpenCL C
    .language_version:
      - 2
      - 0
    .max_flat_workgroup_size: 156
    .name:           fft_rtc_fwd_len1716_factors_13_2_6_11_wgs_156_tpt_156_half_op_CI_CI_unitstride_sbrr_R2C_dirReg
    .private_segment_fixed_size: 0
    .sgpr_count:     32
    .sgpr_spill_count: 0
    .symbol:         fft_rtc_fwd_len1716_factors_13_2_6_11_wgs_156_tpt_156_half_op_CI_CI_unitstride_sbrr_R2C_dirReg.kd
    .uniform_work_group_size: 1
    .uses_dynamic_stack: false
    .vgpr_count:     96
    .vgpr_spill_count: 0
    .wavefront_size: 64
amdhsa.target:   amdgcn-amd-amdhsa--gfx906
amdhsa.version:
  - 1
  - 2
...

	.end_amdgpu_metadata
